;; amdgpu-corpus repo=triton-lang/triton kind=triton arch=gfx1201 opt=O3 lang=triton
	.amdgcn_target "amdgcn-amd-amdhsa--gfx1201"
	.amdhsa_code_object_version 5
	.text
	.globl	matmul_kernel_persistent        ; -- Begin function matmul_kernel_persistent
	.p2align	8
	.type	matmul_kernel_persistent,@function
matmul_kernel_persistent:               ; @matmul_kernel_persistent
.Lfunc_begin0:
	.file	1 "/root/src/amdgpu-assembly/repos/triton-lang__triton-aot" "persistent_matmul.py"
	.loc	1 19 0                          ; persistent_matmul.py:19:0
	.cfi_sections .debug_frame
	.cfi_startproc
; %bb.0:
	s_clause 0x2
	s_load_b128 s[20:23], s[0:1], 0x10
	s_load_b32 s41, s[0:1], 0x20
	s_load_b64 s[18:19], s[0:1], 0x34
.Ltmp0:
	.loc	1 19 0 prologue_end             ; persistent_matmul.py:19
	s_setreg_imm32_b32 hwreg(HW_REG_WAVE_MODE, 23, 1), 1
	.loc	1 40 35                         ; persistent_matmul.py:40:35
	v_and_b32_e32 v68, 31, v0
	.loc	1 61 24                         ; persistent_matmul.py:61:24
	s_bfe_u32 s2, ttmp8, 0x50019
.Ltmp1:
	.file	2 "/root/.local/lib/python3.13/site-packages/triton/language" "standard.py"
	.loc	2 43 17                         ; standard.py:43:17 @[ persistent_matmul.py:31:27 ]
	s_wait_kmcnt 0x0
	s_add_co_i32 s3, s22, 63
.Ltmp2:
	.loc	1 40 35                         ; persistent_matmul.py:40:35
	s_lshl_b32 s39, s2, 5
.Ltmp3:
	.loc	2 43 30                         ; standard.py:43:30 @[ persistent_matmul.py:31:27 ]
	s_ashr_i32 s4, s3, 31
.Ltmp4:
	.loc	1 40 35                         ; persistent_matmul.py:40:35
	v_or_b32_e32 v1, s39, v68
.Ltmp5:
	.loc	2 43 30                         ; standard.py:43:30 @[ persistent_matmul.py:31:27 ]
	s_lshr_b32 s4, s4, 26
.Ltmp6:
	.loc	1 47 41                         ; persistent_matmul.py:47:41
	v_and_b32_e32 v67, 15, v0
.Ltmp7:
	.loc	2 43 30                         ; standard.py:43:30 @[ persistent_matmul.py:31:27 ]
	s_add_co_i32 s3, s3, s4
.Ltmp8:
	.loc	2 43 17 is_stmt 0               ; standard.py:43:17 @[ persistent_matmul.py:32:27 ]
	s_add_co_i32 s4, s23, 63
.Ltmp9:
	.loc	1 47 41 is_stmt 1               ; persistent_matmul.py:47:41
	v_lshrrev_b32_e32 v2, 1, v1
	.loc	1 40 35                         ; persistent_matmul.py:40:35
	s_and_b32 s38, s2, 2
.Ltmp10:
	.loc	2 43 30                         ; standard.py:43:30 @[ persistent_matmul.py:31:27 ]
	s_ashr_i32 s33, s3, 6
.Ltmp11:
	.loc	2 43 30 is_stmt 0               ; standard.py:43:30 @[ persistent_matmul.py:32:27 ]
	s_ashr_i32 s3, s4, 31
.Ltmp12:
	.loc	1 47 41 is_stmt 1               ; persistent_matmul.py:47:41
	s_wait_alu depctr_sa_sdst(0)
	v_lshl_or_b32 v49, s38, 3, v67
	v_and_b32_e32 v50, 24, v2
.Ltmp13:
	.loc	2 43 30                         ; standard.py:43:30 @[ persistent_matmul.py:32:27 ]
	s_lshr_b32 s3, s3, 26
	s_delay_alu instid0(SALU_CYCLE_1) | instskip(NEXT) | instid1(VALU_DEP_2)
	s_add_co_i32 s4, s4, s3
.Ltmp14:
	.loc	1 47 41                         ; persistent_matmul.py:47:41
	v_or_b32_e32 v51, 32, v49
.Ltmp15:
	.loc	2 43 30                         ; standard.py:43:30 @[ persistent_matmul.py:32:27 ]
	s_ashr_i32 s3, s4, 6
.Ltmp16:
	.loc	1 47 41                         ; persistent_matmul.py:47:41
	v_or_b32_e32 v52, 1, v50
	v_or_b32_e32 v53, 2, v50
	;; [unrolled: 1-line block ×15, first 2 shown]
	.loc	1 55 24                         ; persistent_matmul.py:55:24
	s_add_co_i32 s4, s41, 62
	.loc	1 41 38                         ; persistent_matmul.py:41:38
	s_lshl_b32 s35, s3, 3
	.loc	1 34 28                         ; persistent_matmul.py:34:28
	s_mul_i32 s34, s3, s33
	.loc	1 55 24                         ; persistent_matmul.py:55:24
	s_cmp_gt_u32 s4, 62
	s_mov_b32 s3, -1
	s_cbranch_scc0 .LBB0_256
; %bb.1:
	.loc	1 47 41                         ; persistent_matmul.py:47:41
	s_and_b32 s42, s2, 3
	.loc	1 43 59                         ; persistent_matmul.py:43:59
	s_sub_co_i32 s2, s34, ttmp9
.Ltmp17:
	.loc	2 43 17 is_stmt 0               ; standard.py:43:17 @[ persistent_matmul.py:33:25 ]
	s_add_co_i32 s3, s41, 31
.Ltmp18:
	.loc	1 43 59                         ; persistent_matmul.py:43:59
	s_mul_hi_i32 s4, s2, 0x6bca1af3
.Ltmp19:
	.loc	2 43 30                         ; standard.py:43:30 @[ persistent_matmul.py:33:25 ]
	s_ashr_i32 s5, s3, 31
.Ltmp20:
	.loc	1 43 59                         ; persistent_matmul.py:43:59
	s_lshr_b32 s6, s4, 31
	s_ashr_i32 s4, s4, 7
.Ltmp21:
	.loc	2 43 30                         ; standard.py:43:30 @[ persistent_matmul.py:33:25 ]
	s_lshr_b32 s5, s5, 27
.Ltmp22:
	.loc	1 43 59                         ; persistent_matmul.py:43:59
	s_add_co_i32 s7, s4, s6
.Ltmp23:
	.loc	2 43 30                         ; standard.py:43:30 @[ persistent_matmul.py:33:25 ]
	s_add_co_i32 s3, s3, s5
.Ltmp24:
	.loc	1 43 59                         ; persistent_matmul.py:43:59
	s_mulk_i32 s7, 0x130
.Ltmp25:
	.loc	2 43 30                         ; standard.py:43:30 @[ persistent_matmul.py:33:25 ]
	s_ashr_i32 s3, s3, 5
.Ltmp26:
	.loc	1 43 59                         ; persistent_matmul.py:43:59
	s_cmp_lg_u32 s2, s7
	s_clause 0x1
	s_load_b64 s[26:27], s[0:1], 0x24
	s_load_b64 s[28:29], s[0:1], 0x0
	s_cselect_b32 s5, -1, 0
	s_cmp_gt_i32 s2, -1
	.loc	1 60 64 is_stmt 1               ; persistent_matmul.py:60:64
	v_cmp_gt_i32_e32 vcc_lo, s41, v68
	.loc	1 43 59                         ; persistent_matmul.py:43:59
	s_cselect_b32 s2, -1, 0
	v_mov_b32_e32 v3, 0
	s_and_b32 s2, s2, s5
	s_add_co_ci_u32 s8, s4, s6
	s_max_i32 s72, s3, 1
	s_delay_alu instid0(SALU_CYCLE_1) | instskip(NEXT) | instid1(SALU_CYCLE_1)
	s_mul_i32 s8, s8, s72
	s_cmp_gt_i32 s8, 0
	s_cselect_b32 s40, -1, 0
.Ltmp27:
	.loc	1 10 26                         ; persistent_matmul.py:10:26 @[ persistent_matmul.py:44:88 ]
	s_abs_i32 s36, s35
	s_abs_i32 s5, ttmp9
	s_cvt_f32_u32 s2, s36
	s_sub_co_i32 s3, 0, s36
	s_ashr_i32 s37, s35, 31
.Ltmp28:
	.loc	1 57 79                         ; persistent_matmul.py:57:79
	s_wait_kmcnt 0x0
	v_mul_lo_u32 v18, s27, v68
.Ltmp29:
	.loc	1 10 26                         ; persistent_matmul.py:10:26 @[ persistent_matmul.py:44:88 ]
	v_rcp_iflag_f32_e32 v2, s2
	s_delay_alu instid0(TRANS32_DEP_1) | instskip(SKIP_2) | instid1(SALU_CYCLE_2)
	v_readfirstlane_b32 s2, v2
	s_mul_f32 s2, s2, 0x4f7ffffe
	s_wait_alu depctr_sa_sdst(0)
	s_cvt_u32_f32 s2, s2
	s_wait_alu depctr_sa_sdst(0)
	s_delay_alu instid0(SALU_CYCLE_2)
	s_mul_i32 s3, s3, s2
	s_wait_alu depctr_sa_sdst(0)
	s_mul_hi_u32 s3, s2, s3
	s_wait_alu depctr_sa_sdst(0)
	s_add_co_i32 s24, s2, s3
	s_ashr_i32 s3, ttmp9, 31
	s_mul_hi_u32 s2, s5, s24
	s_wait_alu depctr_sa_sdst(0)
	s_xor_b32 s6, s3, s37
	s_mul_i32 s4, s2, s36
	s_add_co_i32 s7, s2, 1
	s_sub_co_i32 s4, s5, s4
	s_delay_alu instid0(SALU_CYCLE_1)
	s_sub_co_i32 s9, s4, s36
	s_cmp_ge_u32 s4, s36
	s_cselect_b32 s2, s7, s2
	s_cselect_b32 s4, s9, s4
	s_wait_alu depctr_sa_sdst(0)
	s_add_co_i32 s7, s2, 1
	s_cmp_ge_u32 s4, s36
	s_cselect_b32 s2, s7, s2
	s_wait_alu depctr_sa_sdst(0)
	s_xor_b32 s2, s2, s6
	s_wait_alu depctr_sa_sdst(0)
	s_sub_co_i32 s4, s2, s6
	s_delay_alu instid0(SALU_CYCLE_1) | instskip(NEXT) | instid1(SALU_CYCLE_1)
	.loc	1 11 29                         ; persistent_matmul.py:11:29 @[ persistent_matmul.py:44:88 ]
	s_lshl_b32 s7, s4, 3
	.loc	1 12 35                         ; persistent_matmul.py:12:35 @[ persistent_matmul.py:44:88 ]
	s_sub_co_i32 s2, s33, s7
	.loc	1 12 48 is_stmt 0               ; persistent_matmul.py:12:48 @[ persistent_matmul.py:44:88 ]
	s_wait_alu depctr_sa_sdst(0)
	s_min_i32 s6, s2, 8
	s_delay_alu instid0(SALU_CYCLE_1) | instskip(NEXT) | instid1(SALU_CYCLE_1)
	.loc	1 13 37 is_stmt 1               ; persistent_matmul.py:13:37 @[ persistent_matmul.py:44:88 ]
	s_abs_i32 s9, s6
	s_cvt_f32_u32 s2, s9
	s_sub_co_i32 s10, 0, s9
	s_wait_alu depctr_sa_sdst(0)
	s_delay_alu instid0(SALU_CYCLE_1) | instskip(NEXT) | instid1(TRANS32_DEP_1)
	v_rcp_iflag_f32_e32 v2, s2
	v_readfirstlane_b32 s2, v2
	v_mov_b32_e32 v2, 0
	s_mul_f32 s2, s2, 0x4f7ffffe
	s_wait_alu depctr_sa_sdst(0)
	s_delay_alu instid0(SALU_CYCLE_2) | instskip(SKIP_1) | instid1(SALU_CYCLE_2)
	s_cvt_u32_f32 s2, s2
	s_wait_alu depctr_sa_sdst(0)
	s_mul_i32 s10, s10, s2
	s_delay_alu instid0(SALU_CYCLE_1) | instskip(NEXT) | instid1(SALU_CYCLE_1)
	s_mul_hi_u32 s10, s2, s10
	s_add_co_i32 s2, s2, s10
	s_wait_alu depctr_sa_sdst(0)
	s_mul_hi_u32 s10, s5, s2
	s_delay_alu instid0(SALU_CYCLE_1) | instskip(NEXT) | instid1(SALU_CYCLE_1)
	s_mul_i32 s10, s10, s9
	s_sub_co_i32 s5, s5, s10
	s_delay_alu instid0(SALU_CYCLE_1) | instskip(SKIP_2) | instid1(SALU_CYCLE_1)
	s_sub_co_i32 s10, s5, s9
	s_cmp_ge_u32 s5, s9
	s_cselect_b32 s5, s10, s5
	s_sub_co_i32 s10, s5, s9
	s_cmp_ge_u32 s5, s9
	s_cselect_b32 s5, s10, s5
	s_delay_alu instid0(SALU_CYCLE_1) | instskip(NEXT) | instid1(SALU_CYCLE_1)
	s_xor_b32 s5, s5, s3
	s_sub_co_i32 s3, s5, s3
	.loc	1 13 27 is_stmt 0               ; persistent_matmul.py:13:27 @[ persistent_matmul.py:44:88 ]
	s_wait_alu depctr_sa_sdst(0)
	s_add_co_i32 s7, s7, s3
	s_delay_alu instid0(SALU_CYCLE_1) | instskip(NEXT) | instid1(SALU_CYCLE_1)
.Ltmp30:
	.loc	1 45 26 is_stmt 1               ; persistent_matmul.py:45:26
	s_lshl_b32 s7, s7, 6
	.loc	1 47 28                         ; persistent_matmul.py:47:28
	s_or_b32 s3, s7, s42
	.loc	1 49 37                         ; persistent_matmul.py:49:37
	s_wait_alu depctr_sa_sdst(0)
	s_cmp_lt_i32 s3, s22
	.loc	1 49 49 is_stmt 0               ; persistent_matmul.py:49:49
	s_cselect_b32 s5, s3, 0
	s_mov_b32 s3, 0
	.loc	1 57 49 is_stmt 1               ; persistent_matmul.py:57:49
	s_mul_i32 s48, s5, s26
	.loc	1 43 59                         ; persistent_matmul.py:43:59
	s_and_b32 s10, vcc_lo, s40
	s_delay_alu instid0(SALU_CYCLE_1)
	.loc	1 60 24                         ; persistent_matmul.py:60:24
	s_and_saveexec_b32 s5, s10
	s_cbranch_execz .LBB0_3
; %bb.2:
	.loc	1 0 24 is_stmt 0                ; persistent_matmul.py:0:24
	v_add_nc_u32_e32 v3, s48, v18
	s_delay_alu instid0(VALU_DEP_1) | instskip(NEXT) | instid1(VALU_DEP_1)
	v_ashrrev_i32_e32 v4, 31, v3
	v_lshlrev_b64_e32 v[3:4], 1, v[3:4]
	s_delay_alu instid0(VALU_DEP_1) | instskip(NEXT) | instid1(VALU_DEP_1)
	v_add_co_u32 v3, vcc_lo, s28, v3
	v_add_co_ci_u32_e64 v4, null, s29, v4, vcc_lo
	.loc	1 60 24                         ; persistent_matmul.py:60:24
	global_load_u16 v3, v[3:4], off
.LBB0_3:
	.loc	1 0 24                          ; persistent_matmul.py:0:24
	s_or_b32 exec_lo, exec_lo, s5
	.loc	1 47 41 is_stmt 1               ; persistent_matmul.py:47:41
	s_or_b32 s43, s42, 4
	s_delay_alu instid0(SALU_CYCLE_1) | instskip(NEXT) | instid1(SALU_CYCLE_1)
	.loc	1 47 28 is_stmt 0               ; persistent_matmul.py:47:28
	s_or_b32 s5, s7, s43
	.loc	1 49 37 is_stmt 1               ; persistent_matmul.py:49:37
	s_cmp_lt_i32 s5, s22
	.loc	1 49 49 is_stmt 0               ; persistent_matmul.py:49:49
	s_cselect_b32 s5, s5, 0
	s_delay_alu instid0(SALU_CYCLE_1)
	.loc	1 57 49 is_stmt 1               ; persistent_matmul.py:57:49
	s_mul_i32 s50, s5, s26
	.loc	1 60 24                         ; persistent_matmul.py:60:24
	s_and_saveexec_b32 s5, s10
	s_cbranch_execz .LBB0_5
; %bb.4:
	.loc	1 57 61                         ; persistent_matmul.py:57:61
	v_add_nc_u32_e32 v4, s50, v18
	s_delay_alu instid0(VALU_DEP_1) | instskip(NEXT) | instid1(VALU_DEP_1)
	.loc	1 57 30 is_stmt 0               ; persistent_matmul.py:57:30
	v_ashrrev_i32_e32 v5, 31, v4
	v_lshlrev_b64_e32 v[4:5], 1, v[4:5]
	s_delay_alu instid0(VALU_DEP_1) | instskip(SKIP_1) | instid1(VALU_DEP_2)
	v_add_co_u32 v4, vcc_lo, s28, v4
	s_wait_alu depctr_va_vcc(0)
	v_add_co_ci_u32_e64 v5, null, s29, v5, vcc_lo
	.loc	1 60 24 is_stmt 1               ; persistent_matmul.py:60:24
	global_load_u16 v2, v[4:5], off
.LBB0_5:
	.loc	1 0 24 is_stmt 0                ; persistent_matmul.py:0:24
	s_or_b32 exec_lo, exec_lo, s5
	.loc	1 47 41 is_stmt 1               ; persistent_matmul.py:47:41
	s_or_b32 s44, s42, 8
	v_dual_mov_b32 v4, 0 :: v_dual_mov_b32 v5, 0
	.loc	1 47 28 is_stmt 0               ; persistent_matmul.py:47:28
	s_or_b32 s5, s7, s44
	s_delay_alu instid0(SALU_CYCLE_1) | instskip(SKIP_1) | instid1(SALU_CYCLE_1)
	.loc	1 49 37 is_stmt 1               ; persistent_matmul.py:49:37
	s_cmp_lt_i32 s5, s22
	.loc	1 49 49 is_stmt 0               ; persistent_matmul.py:49:49
	s_cselect_b32 s5, s5, 0
	.loc	1 57 49 is_stmt 1               ; persistent_matmul.py:57:49
	s_mul_i32 s53, s5, s26
	.loc	1 60 24                         ; persistent_matmul.py:60:24
	s_and_saveexec_b32 s5, s10
	s_cbranch_execz .LBB0_7
; %bb.6:
	.loc	1 57 61                         ; persistent_matmul.py:57:61
	v_add_nc_u32_e32 v5, s53, v18
	s_delay_alu instid0(VALU_DEP_1) | instskip(NEXT) | instid1(VALU_DEP_1)
	.loc	1 57 30 is_stmt 0               ; persistent_matmul.py:57:30
	v_ashrrev_i32_e32 v6, 31, v5
	v_lshlrev_b64_e32 v[5:6], 1, v[5:6]
	s_delay_alu instid0(VALU_DEP_1) | instskip(SKIP_1) | instid1(VALU_DEP_2)
	v_add_co_u32 v5, vcc_lo, s28, v5
	s_wait_alu depctr_va_vcc(0)
	v_add_co_ci_u32_e64 v6, null, s29, v6, vcc_lo
	.loc	1 60 24 is_stmt 1               ; persistent_matmul.py:60:24
	global_load_u16 v5, v[5:6], off
.LBB0_7:
	.loc	1 0 24 is_stmt 0                ; persistent_matmul.py:0:24
	s_or_b32 exec_lo, exec_lo, s5
	.loc	1 47 41 is_stmt 1               ; persistent_matmul.py:47:41
	s_or_b32 s46, s42, 12
	s_delay_alu instid0(SALU_CYCLE_1) | instskip(NEXT) | instid1(SALU_CYCLE_1)
	.loc	1 47 28 is_stmt 0               ; persistent_matmul.py:47:28
	s_or_b32 s5, s7, s46
	.loc	1 49 37 is_stmt 1               ; persistent_matmul.py:49:37
	s_cmp_lt_i32 s5, s22
	.loc	1 49 49 is_stmt 0               ; persistent_matmul.py:49:49
	s_cselect_b32 s5, s5, 0
	s_delay_alu instid0(SALU_CYCLE_1)
	.loc	1 57 49 is_stmt 1               ; persistent_matmul.py:57:49
	s_mul_i32 s55, s5, s26
	.loc	1 60 24                         ; persistent_matmul.py:60:24
	s_and_saveexec_b32 s5, s10
	s_cbranch_execz .LBB0_9
; %bb.8:
	.loc	1 57 61                         ; persistent_matmul.py:57:61
	v_add_nc_u32_e32 v6, s55, v18
	s_delay_alu instid0(VALU_DEP_1) | instskip(NEXT) | instid1(VALU_DEP_1)
	.loc	1 57 30 is_stmt 0               ; persistent_matmul.py:57:30
	v_ashrrev_i32_e32 v7, 31, v6
	v_lshlrev_b64_e32 v[6:7], 1, v[6:7]
	s_delay_alu instid0(VALU_DEP_1) | instskip(SKIP_1) | instid1(VALU_DEP_2)
	v_add_co_u32 v6, vcc_lo, s28, v6
	s_wait_alu depctr_va_vcc(0)
	v_add_co_ci_u32_e64 v7, null, s29, v7, vcc_lo
	.loc	1 60 24 is_stmt 1               ; persistent_matmul.py:60:24
	global_load_u16 v4, v[6:7], off
.LBB0_9:
	.loc	1 0 24 is_stmt 0                ; persistent_matmul.py:0:24
	s_or_b32 exec_lo, exec_lo, s5
	.loc	1 47 41 is_stmt 1               ; persistent_matmul.py:47:41
	s_or_b32 s47, s42, 16
	v_dual_mov_b32 v6, 0 :: v_dual_mov_b32 v7, 0
	.loc	1 47 28 is_stmt 0               ; persistent_matmul.py:47:28
	s_or_b32 s5, s7, s47
	s_delay_alu instid0(SALU_CYCLE_1) | instskip(SKIP_1) | instid1(SALU_CYCLE_1)
	.loc	1 49 37 is_stmt 1               ; persistent_matmul.py:49:37
	s_cmp_lt_i32 s5, s22
	.loc	1 49 49 is_stmt 0               ; persistent_matmul.py:49:49
	s_cselect_b32 s5, s5, 0
	.loc	1 57 49 is_stmt 1               ; persistent_matmul.py:57:49
	s_mul_i32 s57, s5, s26
	.loc	1 60 24                         ; persistent_matmul.py:60:24
	s_and_saveexec_b32 s5, s10
	s_cbranch_execz .LBB0_11
; %bb.10:
	.loc	1 57 61                         ; persistent_matmul.py:57:61
	v_add_nc_u32_e32 v7, s57, v18
	s_delay_alu instid0(VALU_DEP_1) | instskip(NEXT) | instid1(VALU_DEP_1)
	.loc	1 57 30 is_stmt 0               ; persistent_matmul.py:57:30
	v_ashrrev_i32_e32 v8, 31, v7
	v_lshlrev_b64_e32 v[7:8], 1, v[7:8]
	s_delay_alu instid0(VALU_DEP_1) | instskip(SKIP_1) | instid1(VALU_DEP_2)
	v_add_co_u32 v7, vcc_lo, s28, v7
	s_wait_alu depctr_va_vcc(0)
	v_add_co_ci_u32_e64 v8, null, s29, v8, vcc_lo
	.loc	1 60 24 is_stmt 1               ; persistent_matmul.py:60:24
	global_load_u16 v7, v[7:8], off
.LBB0_11:
	.loc	1 0 24 is_stmt 0                ; persistent_matmul.py:0:24
	s_or_b32 exec_lo, exec_lo, s5
	.loc	1 47 41 is_stmt 1               ; persistent_matmul.py:47:41
	s_or_b32 s49, s42, 20
	.loc	1 47 28 is_stmt 0               ; persistent_matmul.py:47:28
	s_wait_alu depctr_sa_sdst(0)
	s_or_b32 s5, s7, s49
	s_delay_alu instid0(SALU_CYCLE_1) | instskip(SKIP_1) | instid1(SALU_CYCLE_1)
	.loc	1 49 37 is_stmt 1               ; persistent_matmul.py:49:37
	s_cmp_lt_i32 s5, s22
	.loc	1 49 49 is_stmt 0               ; persistent_matmul.py:49:49
	s_cselect_b32 s5, s5, 0
	.loc	1 57 49 is_stmt 1               ; persistent_matmul.py:57:49
	s_mul_i32 s59, s5, s26
	.loc	1 60 24                         ; persistent_matmul.py:60:24
	s_and_saveexec_b32 s5, s10
	s_cbranch_execz .LBB0_13
; %bb.12:
	.loc	1 57 61                         ; persistent_matmul.py:57:61
	v_add_nc_u32_e32 v8, s59, v18
	s_delay_alu instid0(VALU_DEP_1) | instskip(NEXT) | instid1(VALU_DEP_1)
	.loc	1 57 30 is_stmt 0               ; persistent_matmul.py:57:30
	v_ashrrev_i32_e32 v9, 31, v8
	v_lshlrev_b64_e32 v[8:9], 1, v[8:9]
	s_delay_alu instid0(VALU_DEP_1) | instskip(SKIP_1) | instid1(VALU_DEP_2)
	v_add_co_u32 v8, vcc_lo, s28, v8
	s_wait_alu depctr_va_vcc(0)
	v_add_co_ci_u32_e64 v9, null, s29, v9, vcc_lo
	.loc	1 60 24 is_stmt 1               ; persistent_matmul.py:60:24
	global_load_u16 v6, v[8:9], off
.LBB0_13:
	.loc	1 0 24 is_stmt 0                ; persistent_matmul.py:0:24
	s_or_b32 exec_lo, exec_lo, s5
	.loc	1 47 41 is_stmt 1               ; persistent_matmul.py:47:41
	s_or_b32 s51, s42, 24
	v_dual_mov_b32 v8, 0 :: v_dual_mov_b32 v9, 0
	.loc	1 47 28 is_stmt 0               ; persistent_matmul.py:47:28
	s_wait_alu depctr_sa_sdst(0)
	s_or_b32 s5, s7, s51
	s_delay_alu instid0(SALU_CYCLE_1) | instskip(SKIP_1) | instid1(SALU_CYCLE_1)
	.loc	1 49 37 is_stmt 1               ; persistent_matmul.py:49:37
	s_cmp_lt_i32 s5, s22
	.loc	1 49 49 is_stmt 0               ; persistent_matmul.py:49:49
	s_cselect_b32 s5, s5, 0
	.loc	1 57 49 is_stmt 1               ; persistent_matmul.py:57:49
	s_mul_i32 s62, s5, s26
	.loc	1 60 24                         ; persistent_matmul.py:60:24
	s_and_saveexec_b32 s5, s10
	s_cbranch_execz .LBB0_15
; %bb.14:
	.loc	1 57 61                         ; persistent_matmul.py:57:61
	v_add_nc_u32_e32 v9, s62, v18
	s_delay_alu instid0(VALU_DEP_1) | instskip(NEXT) | instid1(VALU_DEP_1)
	.loc	1 57 30 is_stmt 0               ; persistent_matmul.py:57:30
	v_ashrrev_i32_e32 v10, 31, v9
	v_lshlrev_b64_e32 v[9:10], 1, v[9:10]
	s_delay_alu instid0(VALU_DEP_1) | instskip(SKIP_1) | instid1(VALU_DEP_2)
	v_add_co_u32 v9, vcc_lo, s28, v9
	s_wait_alu depctr_va_vcc(0)
	v_add_co_ci_u32_e64 v10, null, s29, v10, vcc_lo
	.loc	1 60 24 is_stmt 1               ; persistent_matmul.py:60:24
	global_load_u16 v9, v[9:10], off
.LBB0_15:
	.loc	1 0 24 is_stmt 0                ; persistent_matmul.py:0:24
	s_or_b32 exec_lo, exec_lo, s5
	.loc	1 47 41 is_stmt 1               ; persistent_matmul.py:47:41
	s_or_b32 s52, s42, 28
	.loc	1 47 28 is_stmt 0               ; persistent_matmul.py:47:28
	s_wait_alu depctr_sa_sdst(0)
	s_or_b32 s5, s7, s52
	s_delay_alu instid0(SALU_CYCLE_1) | instskip(SKIP_1) | instid1(SALU_CYCLE_1)
	.loc	1 49 37 is_stmt 1               ; persistent_matmul.py:49:37
	s_cmp_lt_i32 s5, s22
	.loc	1 49 49 is_stmt 0               ; persistent_matmul.py:49:49
	s_cselect_b32 s5, s5, 0
	.loc	1 57 49 is_stmt 1               ; persistent_matmul.py:57:49
	s_mul_i32 s63, s5, s26
	.loc	1 60 24                         ; persistent_matmul.py:60:24
	s_and_saveexec_b32 s5, s10
	s_cbranch_execz .LBB0_17
; %bb.16:
	.loc	1 57 61                         ; persistent_matmul.py:57:61
	s_wait_alu depctr_sa_sdst(0)
	v_add_nc_u32_e32 v10, s63, v18
	s_delay_alu instid0(VALU_DEP_1) | instskip(NEXT) | instid1(VALU_DEP_1)
	.loc	1 57 30 is_stmt 0               ; persistent_matmul.py:57:30
	v_ashrrev_i32_e32 v11, 31, v10
	v_lshlrev_b64_e32 v[10:11], 1, v[10:11]
	s_delay_alu instid0(VALU_DEP_1) | instskip(SKIP_1) | instid1(VALU_DEP_2)
	v_add_co_u32 v10, vcc_lo, s28, v10
	s_wait_alu depctr_va_vcc(0)
	v_add_co_ci_u32_e64 v11, null, s29, v11, vcc_lo
	.loc	1 60 24 is_stmt 1               ; persistent_matmul.py:60:24
	global_load_u16 v8, v[10:11], off
.LBB0_17:
	.loc	1 0 24 is_stmt 0                ; persistent_matmul.py:0:24
	s_or_b32 exec_lo, exec_lo, s5
	.loc	1 47 41 is_stmt 1               ; persistent_matmul.py:47:41
	s_or_b32 s54, s42, 32
	v_dual_mov_b32 v10, 0 :: v_dual_mov_b32 v11, 0
	.loc	1 47 28 is_stmt 0               ; persistent_matmul.py:47:28
	s_wait_alu depctr_sa_sdst(0)
	s_or_b32 s5, s7, s54
	s_delay_alu instid0(SALU_CYCLE_1) | instskip(SKIP_1) | instid1(SALU_CYCLE_1)
	.loc	1 49 37 is_stmt 1               ; persistent_matmul.py:49:37
	s_cmp_lt_i32 s5, s22
	.loc	1 49 49 is_stmt 0               ; persistent_matmul.py:49:49
	s_cselect_b32 s5, s5, 0
	.loc	1 57 49 is_stmt 1               ; persistent_matmul.py:57:49
	s_mul_i32 s65, s5, s26
	.loc	1 60 24                         ; persistent_matmul.py:60:24
	s_and_saveexec_b32 s5, s10
	s_cbranch_execz .LBB0_19
; %bb.18:
	.loc	1 57 61                         ; persistent_matmul.py:57:61
	v_add_nc_u32_e32 v11, s65, v18
	s_delay_alu instid0(VALU_DEP_1) | instskip(NEXT) | instid1(VALU_DEP_1)
	.loc	1 57 30 is_stmt 0               ; persistent_matmul.py:57:30
	v_ashrrev_i32_e32 v12, 31, v11
	v_lshlrev_b64_e32 v[11:12], 1, v[11:12]
	s_delay_alu instid0(VALU_DEP_1) | instskip(SKIP_1) | instid1(VALU_DEP_2)
	v_add_co_u32 v11, vcc_lo, s28, v11
	s_wait_alu depctr_va_vcc(0)
	v_add_co_ci_u32_e64 v12, null, s29, v12, vcc_lo
	.loc	1 60 24 is_stmt 1               ; persistent_matmul.py:60:24
	global_load_u16 v11, v[11:12], off
.LBB0_19:
	.loc	1 0 24 is_stmt 0                ; persistent_matmul.py:0:24
	s_or_b32 exec_lo, exec_lo, s5
	.loc	1 47 41 is_stmt 1               ; persistent_matmul.py:47:41
	s_or_b32 s56, s42, 36
	.loc	1 47 28 is_stmt 0               ; persistent_matmul.py:47:28
	s_wait_alu depctr_sa_sdst(0)
	s_or_b32 s5, s7, s56
	s_delay_alu instid0(SALU_CYCLE_1) | instskip(SKIP_1) | instid1(SALU_CYCLE_1)
	.loc	1 49 37 is_stmt 1               ; persistent_matmul.py:49:37
	s_cmp_lt_i32 s5, s22
	.loc	1 49 49 is_stmt 0               ; persistent_matmul.py:49:49
	s_cselect_b32 s5, s5, 0
	.loc	1 57 49 is_stmt 1               ; persistent_matmul.py:57:49
	s_mul_i32 s67, s5, s26
	.loc	1 60 24                         ; persistent_matmul.py:60:24
	s_and_saveexec_b32 s5, s10
	s_cbranch_execz .LBB0_21
; %bb.20:
	.loc	1 57 61                         ; persistent_matmul.py:57:61
	v_add_nc_u32_e32 v12, s67, v18
	s_delay_alu instid0(VALU_DEP_1) | instskip(NEXT) | instid1(VALU_DEP_1)
	.loc	1 57 30 is_stmt 0               ; persistent_matmul.py:57:30
	v_ashrrev_i32_e32 v13, 31, v12
	v_lshlrev_b64_e32 v[12:13], 1, v[12:13]
	s_delay_alu instid0(VALU_DEP_1) | instskip(SKIP_1) | instid1(VALU_DEP_2)
	v_add_co_u32 v12, vcc_lo, s28, v12
	s_wait_alu depctr_va_vcc(0)
	v_add_co_ci_u32_e64 v13, null, s29, v13, vcc_lo
	.loc	1 60 24 is_stmt 1               ; persistent_matmul.py:60:24
	global_load_u16 v10, v[12:13], off
.LBB0_21:
	.loc	1 0 24 is_stmt 0                ; persistent_matmul.py:0:24
	s_or_b32 exec_lo, exec_lo, s5
	.loc	1 47 41 is_stmt 1               ; persistent_matmul.py:47:41
	s_or_b32 s58, s42, 40
	v_dual_mov_b32 v12, 0 :: v_dual_mov_b32 v13, 0
	.loc	1 47 28 is_stmt 0               ; persistent_matmul.py:47:28
	s_wait_alu depctr_sa_sdst(0)
	s_or_b32 s5, s7, s58
	s_delay_alu instid0(SALU_CYCLE_1) | instskip(SKIP_1) | instid1(SALU_CYCLE_1)
	.loc	1 49 37 is_stmt 1               ; persistent_matmul.py:49:37
	s_cmp_lt_i32 s5, s22
	.loc	1 49 49 is_stmt 0               ; persistent_matmul.py:49:49
	s_cselect_b32 s5, s5, 0
	.loc	1 57 49 is_stmt 1               ; persistent_matmul.py:57:49
	s_mul_i32 s70, s5, s26
	.loc	1 60 24                         ; persistent_matmul.py:60:24
	s_and_saveexec_b32 s5, s10
	s_cbranch_execz .LBB0_23
; %bb.22:
	.loc	1 57 61                         ; persistent_matmul.py:57:61
	v_add_nc_u32_e32 v13, s70, v18
	s_delay_alu instid0(VALU_DEP_1) | instskip(NEXT) | instid1(VALU_DEP_1)
	.loc	1 57 30 is_stmt 0               ; persistent_matmul.py:57:30
	v_ashrrev_i32_e32 v14, 31, v13
	v_lshlrev_b64_e32 v[13:14], 1, v[13:14]
	s_delay_alu instid0(VALU_DEP_1) | instskip(SKIP_1) | instid1(VALU_DEP_2)
	v_add_co_u32 v13, vcc_lo, s28, v13
	s_wait_alu depctr_va_vcc(0)
	v_add_co_ci_u32_e64 v14, null, s29, v14, vcc_lo
	.loc	1 60 24 is_stmt 1               ; persistent_matmul.py:60:24
	global_load_u16 v13, v[13:14], off
.LBB0_23:
	.loc	1 0 24 is_stmt 0                ; persistent_matmul.py:0:24
	s_or_b32 exec_lo, exec_lo, s5
	.loc	1 47 41 is_stmt 1               ; persistent_matmul.py:47:41
	s_or_b32 s60, s42, 44
	s_mul_i32 s4, s4, s35
	.loc	1 47 28 is_stmt 0               ; persistent_matmul.py:47:28
	s_or_b32 s5, s7, s60
	s_delay_alu instid0(SALU_CYCLE_1) | instskip(SKIP_1) | instid1(SALU_CYCLE_1)
	.loc	1 49 37 is_stmt 1               ; persistent_matmul.py:49:37
	s_cmp_lt_i32 s5, s22
	.loc	1 49 49 is_stmt 0               ; persistent_matmul.py:49:49
	s_cselect_b32 s5, s5, 0
	.loc	1 57 49 is_stmt 1               ; persistent_matmul.py:57:49
	s_mul_i32 s74, s5, s26
	.loc	1 60 24                         ; persistent_matmul.py:60:24
	s_and_saveexec_b32 s5, s10
	s_cbranch_execz .LBB0_25
; %bb.24:
	.loc	1 57 61                         ; persistent_matmul.py:57:61
	v_add_nc_u32_e32 v14, s74, v18
	s_delay_alu instid0(VALU_DEP_1) | instskip(NEXT) | instid1(VALU_DEP_1)
	.loc	1 57 30 is_stmt 0               ; persistent_matmul.py:57:30
	v_ashrrev_i32_e32 v15, 31, v14
	v_lshlrev_b64_e32 v[14:15], 1, v[14:15]
	s_delay_alu instid0(VALU_DEP_1) | instskip(SKIP_1) | instid1(VALU_DEP_2)
	v_add_co_u32 v14, vcc_lo, s28, v14
	s_wait_alu depctr_va_vcc(0)
	v_add_co_ci_u32_e64 v15, null, s29, v15, vcc_lo
	.loc	1 60 24 is_stmt 1               ; persistent_matmul.py:60:24
	global_load_u16 v12, v[14:15], off
.LBB0_25:
	.loc	1 0 24 is_stmt 0                ; persistent_matmul.py:0:24
	s_or_b32 exec_lo, exec_lo, s5
	.loc	1 47 41 is_stmt 1               ; persistent_matmul.py:47:41
	s_or_b32 s61, s42, 48
	s_sub_co_i32 s11, ttmp9, s4
	.loc	1 47 28 is_stmt 0               ; persistent_matmul.py:47:28
	s_or_b32 s5, s7, s61
	v_dual_mov_b32 v14, 0 :: v_dual_mov_b32 v15, 0
	.loc	1 49 37 is_stmt 1               ; persistent_matmul.py:49:37
	s_cmp_lt_i32 s5, s22
	.loc	1 49 49 is_stmt 0               ; persistent_matmul.py:49:49
	s_cselect_b32 s4, s5, 0
	s_delay_alu instid0(SALU_CYCLE_1)
	.loc	1 57 49 is_stmt 1               ; persistent_matmul.py:57:49
	s_mul_i32 s76, s4, s26
	.loc	1 60 24                         ; persistent_matmul.py:60:24
	s_and_saveexec_b32 s4, s10
	s_cbranch_execz .LBB0_27
; %bb.26:
	.loc	1 57 61                         ; persistent_matmul.py:57:61
	v_add_nc_u32_e32 v15, s76, v18
	s_delay_alu instid0(VALU_DEP_1) | instskip(NEXT) | instid1(VALU_DEP_1)
	.loc	1 57 30 is_stmt 0               ; persistent_matmul.py:57:30
	v_ashrrev_i32_e32 v16, 31, v15
	v_lshlrev_b64_e32 v[15:16], 1, v[15:16]
	s_delay_alu instid0(VALU_DEP_1) | instskip(SKIP_1) | instid1(VALU_DEP_2)
	v_add_co_u32 v15, vcc_lo, s28, v15
	s_wait_alu depctr_va_vcc(0)
	v_add_co_ci_u32_e64 v16, null, s29, v16, vcc_lo
	.loc	1 60 24 is_stmt 1               ; persistent_matmul.py:60:24
	global_load_u16 v15, v[15:16], off
.LBB0_27:
	.loc	1 0 24 is_stmt 0                ; persistent_matmul.py:0:24
	s_or_b32 exec_lo, exec_lo, s4
	.loc	1 47 41 is_stmt 1               ; persistent_matmul.py:47:41
	s_or_b32 s64, s42, 52
	s_abs_i32 s4, s11
	.loc	1 47 28 is_stmt 0               ; persistent_matmul.py:47:28
	s_wait_alu depctr_sa_sdst(0)
	s_or_b32 s5, s7, s64
	s_delay_alu instid0(SALU_CYCLE_1) | instskip(SKIP_1) | instid1(SALU_CYCLE_1)
	.loc	1 49 37 is_stmt 1               ; persistent_matmul.py:49:37
	s_cmp_lt_i32 s5, s22
	.loc	1 49 49 is_stmt 0               ; persistent_matmul.py:49:49
	s_cselect_b32 s5, s5, 0
	.loc	1 57 49 is_stmt 1               ; persistent_matmul.py:57:49
	s_mul_i32 s78, s5, s26
	.loc	1 60 24                         ; persistent_matmul.py:60:24
	s_and_saveexec_b32 s5, s10
	s_cbranch_execz .LBB0_29
; %bb.28:
	.loc	1 57 61                         ; persistent_matmul.py:57:61
	v_add_nc_u32_e32 v16, s78, v18
	s_delay_alu instid0(VALU_DEP_1) | instskip(NEXT) | instid1(VALU_DEP_1)
	.loc	1 57 30 is_stmt 0               ; persistent_matmul.py:57:30
	v_ashrrev_i32_e32 v17, 31, v16
	v_lshlrev_b64_e32 v[16:17], 1, v[16:17]
	s_delay_alu instid0(VALU_DEP_1) | instskip(SKIP_1) | instid1(VALU_DEP_2)
	v_add_co_u32 v16, vcc_lo, s28, v16
	s_wait_alu depctr_va_vcc(0)
	v_add_co_ci_u32_e64 v17, null, s29, v17, vcc_lo
	.loc	1 60 24 is_stmt 1               ; persistent_matmul.py:60:24
	global_load_u16 v14, v[16:17], off
.LBB0_29:
	.loc	1 0 24 is_stmt 0                ; persistent_matmul.py:0:24
	s_or_b32 exec_lo, exec_lo, s5
	.loc	1 47 41 is_stmt 1               ; persistent_matmul.py:47:41
	s_or_b32 s66, s42, 56
	v_dual_mov_b32 v16, 0 :: v_dual_mov_b32 v17, 0
	.loc	1 47 28 is_stmt 0               ; persistent_matmul.py:47:28
	s_wait_alu depctr_sa_sdst(0)
	s_or_b32 s5, s7, s66
	s_delay_alu instid0(SALU_CYCLE_1)
	.loc	1 49 37 is_stmt 1               ; persistent_matmul.py:49:37
	s_cmp_lt_i32 s5, s22
	.loc	1 49 49 is_stmt 0               ; persistent_matmul.py:49:49
	s_cselect_b32 s12, s5, 0
	s_mov_b32 s5, s3
	.loc	1 57 49 is_stmt 1               ; persistent_matmul.py:57:49
	s_mul_i32 s80, s12, s26
	.loc	1 60 24                         ; persistent_matmul.py:60:24
	s_and_saveexec_b32 s12, s10
	s_cbranch_execz .LBB0_31
; %bb.30:
	.loc	1 57 61                         ; persistent_matmul.py:57:61
	v_add_nc_u32_e32 v19, s80, v18
	s_delay_alu instid0(VALU_DEP_1) | instskip(NEXT) | instid1(VALU_DEP_1)
	.loc	1 57 30 is_stmt 0               ; persistent_matmul.py:57:30
	v_ashrrev_i32_e32 v20, 31, v19
	v_lshlrev_b64_e32 v[19:20], 1, v[19:20]
	s_delay_alu instid0(VALU_DEP_1) | instskip(SKIP_1) | instid1(VALU_DEP_2)
	v_add_co_u32 v19, vcc_lo, s28, v19
	s_wait_alu depctr_va_vcc(0)
	v_add_co_ci_u32_e64 v20, null, s29, v20, vcc_lo
	.loc	1 60 24 is_stmt 1               ; persistent_matmul.py:60:24
	global_load_u16 v17, v[19:20], off
.LBB0_31:
	.loc	1 0 24 is_stmt 0                ; persistent_matmul.py:0:24
	s_or_b32 exec_lo, exec_lo, s12
	s_clause 0x1
	s_load_b64 s[30:31], s[0:1], 0x8
	s_load_b32 s68, s[0:1], 0x30
	.loc	1 47 41 is_stmt 1               ; persistent_matmul.py:47:41
	s_or_b32 s69, s42, 60
	s_ashr_i32 s12, s6, 31
	.loc	1 47 28 is_stmt 0               ; persistent_matmul.py:47:28
	s_or_b32 s13, s7, s69
	s_ashr_i32 s11, s11, 31
	.loc	1 49 37 is_stmt 1               ; persistent_matmul.py:49:37
	s_cmp_lt_i32 s13, s22
	s_mul_u64 s[6:7], s[4:5], s[2:3]
	.loc	1 49 49 is_stmt 0               ; persistent_matmul.py:49:49
	s_cselect_b32 s2, s13, 0
	.loc	1 57 49 is_stmt 1               ; persistent_matmul.py:57:49
	s_wait_alu depctr_sa_sdst(0)
	s_mul_i32 s84, s2, s26
	.loc	1 60 24                         ; persistent_matmul.py:60:24
	s_and_saveexec_b32 s2, s10
	s_cbranch_execz .LBB0_33
; %bb.32:
	.loc	1 57 61                         ; persistent_matmul.py:57:61
	v_add_nc_u32_e32 v18, s84, v18
	s_delay_alu instid0(VALU_DEP_1) | instskip(NEXT) | instid1(VALU_DEP_1)
	.loc	1 57 30 is_stmt 0               ; persistent_matmul.py:57:30
	v_ashrrev_i32_e32 v19, 31, v18
	v_lshlrev_b64_e32 v[18:19], 1, v[18:19]
	s_delay_alu instid0(VALU_DEP_1) | instskip(SKIP_1) | instid1(VALU_DEP_2)
	v_add_co_u32 v18, vcc_lo, s28, v18
	s_wait_alu depctr_va_vcc(0)
	v_add_co_ci_u32_e64 v19, null, s29, v19, vcc_lo
	.loc	1 60 24 is_stmt 1               ; persistent_matmul.py:60:24
	global_load_u16 v16, v[18:19], off
.LBB0_33:
	.loc	1 0 24 is_stmt 0                ; persistent_matmul.py:0:24
	s_wait_alu depctr_sa_sdst(0)
	s_or_b32 exec_lo, exec_lo, s2
.Ltmp31:
	.loc	1 14 44 is_stmt 1               ; persistent_matmul.py:14:44 @[ persistent_matmul.py:44:88 ]
	s_mul_i32 s2, s7, s9
	s_xor_b32 s5, s11, s12
	s_wait_alu depctr_sa_sdst(0)
	s_sub_co_i32 s2, s4, s2
	s_add_co_i32 s4, s7, 1
	s_wait_alu depctr_sa_sdst(0)
	s_sub_co_i32 s6, s2, s9
	s_cmp_ge_u32 s2, s9
.Ltmp32:
	.loc	1 47 41                         ; persistent_matmul.py:47:41
	v_and_b32_e32 v69, 63, v1
.Ltmp33:
	.loc	1 14 44                         ; persistent_matmul.py:14:44 @[ persistent_matmul.py:44:88 ]
	s_cselect_b32 s4, s4, s7
	s_cselect_b32 s2, s6, s2
	s_add_co_i32 s6, s4, 1
	s_wait_alu depctr_sa_sdst(0)
	s_cmp_ge_u32 s2, s9
	s_load_b32 s71, s[0:1], 0x2c
	s_cselect_b32 s2, s6, s4
.Ltmp34:
	.loc	1 40 35                         ; persistent_matmul.py:40:35
	s_lshr_b32 s73, s38, 1
.Ltmp35:
	.loc	1 14 44                         ; persistent_matmul.py:14:44 @[ persistent_matmul.py:44:88 ]
	s_wait_alu depctr_sa_sdst(0)
	s_xor_b32 s2, s2, s5
	v_mov_b32_e32 v19, 0
	s_wait_alu depctr_sa_sdst(0)
	s_sub_co_i32 s2, s2, s5
.Ltmp36:
	.loc	1 61 64                         ; persistent_matmul.py:61:64
	s_cmp_ge_i32 s73, s41
	.loc	1 48 28                         ; persistent_matmul.py:48:28
	s_wait_alu depctr_sa_sdst(0)
	v_lshl_or_b32 v18, s2, 6, v69
	.loc	1 61 64                         ; persistent_matmul.py:61:64
	s_cselect_b32 s0, -1, 0
	.loc	1 43 59                         ; persistent_matmul.py:43:59
	s_xor_b32 s45, s40, -1
	s_delay_alu instid0(SALU_CYCLE_1) | instskip(NEXT) | instid1(VALU_DEP_1)
	.loc	1 61 24                         ; persistent_matmul.py:61:24
	s_or_b32 s0, s0, s45
	.loc	1 50 37                         ; persistent_matmul.py:50:37
	v_cmp_gt_i32_e32 vcc_lo, s23, v18
	.loc	1 50 49 is_stmt 0               ; persistent_matmul.py:50:49
	s_wait_alu depctr_va_vcc(0)
	v_cndmask_b32_e32 v18, 0, v18, vcc_lo
	.loc	1 61 24 is_stmt 1               ; persistent_matmul.py:61:24
	s_and_b32 vcc_lo, exec_lo, s0
	.loc	1 58 79                         ; persistent_matmul.py:58:79
	s_wait_kmcnt 0x0
	s_delay_alu instid0(VALU_DEP_1)
	v_mul_lo_u32 v48, v18, s68
	v_mov_b32_e32 v18, 0
	s_wait_alu depctr_sa_sdst(0)
	s_cbranch_vccnz .LBB0_35
; %bb.34:
	.loc	1 0 79 is_stmt 0                ; persistent_matmul.py:0:79
	s_delay_alu instid0(VALU_DEP_2) | instskip(NEXT) | instid1(VALU_DEP_1)
	v_mad_co_u64_u32 v[19:20], null, s71, s73, v[48:49]
	v_ashrrev_i32_e32 v20, 31, v19
	s_delay_alu instid0(VALU_DEP_1) | instskip(NEXT) | instid1(VALU_DEP_1)
	v_lshlrev_b64_e32 v[19:20], 1, v[19:20]
	v_add_co_u32 v19, vcc_lo, s30, v19
	s_wait_alu depctr_va_vcc(0)
	s_delay_alu instid0(VALU_DEP_2)
	v_add_co_ci_u32_e64 v20, null, s31, v20, vcc_lo
	.loc	1 61 24 is_stmt 1               ; persistent_matmul.py:61:24
	global_load_u16 v19, v[19:20], off
.LBB0_35:
	.loc	1 40 35                         ; persistent_matmul.py:40:35
	s_or_b32 s75, s73, 2
	.loc	1 61 64                         ; persistent_matmul.py:61:64
	s_wait_alu depctr_sa_sdst(0)
	s_cmp_ge_i32 s75, s41
	s_cselect_b32 s0, -1, 0
	s_delay_alu instid0(SALU_CYCLE_1) | instskip(NEXT) | instid1(SALU_CYCLE_1)
	.loc	1 61 24 is_stmt 0               ; persistent_matmul.py:61:24
	s_or_b32 s0, s0, s45
	s_and_b32 vcc_lo, exec_lo, s0
	s_wait_alu depctr_sa_sdst(0)
	s_cbranch_vccnz .LBB0_37
; %bb.36:
	.loc	1 58 60 is_stmt 1               ; persistent_matmul.py:58:60
	v_mad_co_u64_u32 v[20:21], null, s71, s75, v[48:49]
	s_delay_alu instid0(VALU_DEP_1) | instskip(NEXT) | instid1(VALU_DEP_1)
	.loc	1 58 30 is_stmt 0               ; persistent_matmul.py:58:30
	v_ashrrev_i32_e32 v21, 31, v20
	v_lshlrev_b64_e32 v[20:21], 1, v[20:21]
	s_delay_alu instid0(VALU_DEP_1) | instskip(SKIP_1) | instid1(VALU_DEP_2)
	v_add_co_u32 v20, vcc_lo, s30, v20
	s_wait_alu depctr_va_vcc(0)
	v_add_co_ci_u32_e64 v21, null, s31, v21, vcc_lo
	.loc	1 61 24 is_stmt 1               ; persistent_matmul.py:61:24
	global_load_u16 v18, v[20:21], off
.LBB0_37:
	.loc	1 40 35                         ; persistent_matmul.py:40:35
	s_or_b32 s77, s73, 4
	v_dual_mov_b32 v20, 0 :: v_dual_mov_b32 v21, 0
	.loc	1 61 64                         ; persistent_matmul.py:61:64
	s_wait_alu depctr_sa_sdst(0)
	s_cmp_ge_i32 s77, s41
	s_cselect_b32 s0, -1, 0
	s_delay_alu instid0(SALU_CYCLE_1) | instskip(NEXT) | instid1(SALU_CYCLE_1)
	.loc	1 61 24 is_stmt 0               ; persistent_matmul.py:61:24
	s_or_b32 s0, s0, s45
	s_and_b32 vcc_lo, exec_lo, s0
	s_wait_alu depctr_sa_sdst(0)
	s_cbranch_vccnz .LBB0_39
; %bb.38:
	.loc	1 58 60 is_stmt 1               ; persistent_matmul.py:58:60
	v_mad_co_u64_u32 v[21:22], null, s71, s77, v[48:49]
	s_delay_alu instid0(VALU_DEP_1) | instskip(NEXT) | instid1(VALU_DEP_1)
	.loc	1 58 30 is_stmt 0               ; persistent_matmul.py:58:30
	v_ashrrev_i32_e32 v22, 31, v21
	v_lshlrev_b64_e32 v[21:22], 1, v[21:22]
	s_delay_alu instid0(VALU_DEP_1) | instskip(SKIP_1) | instid1(VALU_DEP_2)
	v_add_co_u32 v21, vcc_lo, s30, v21
	s_wait_alu depctr_va_vcc(0)
	v_add_co_ci_u32_e64 v22, null, s31, v22, vcc_lo
	.loc	1 61 24 is_stmt 1               ; persistent_matmul.py:61:24
	global_load_u16 v21, v[21:22], off
.LBB0_39:
	.loc	1 40 35                         ; persistent_matmul.py:40:35
	s_or_b32 s79, s73, 6
	.loc	1 61 64                         ; persistent_matmul.py:61:64
	s_wait_alu depctr_sa_sdst(0)
	s_cmp_ge_i32 s79, s41
	s_cselect_b32 s0, -1, 0
	s_delay_alu instid0(SALU_CYCLE_1) | instskip(NEXT) | instid1(SALU_CYCLE_1)
	.loc	1 61 24 is_stmt 0               ; persistent_matmul.py:61:24
	s_or_b32 s0, s0, s45
	s_and_b32 vcc_lo, exec_lo, s0
	s_wait_alu depctr_sa_sdst(0)
	s_cbranch_vccnz .LBB0_41
; %bb.40:
	.loc	1 58 60 is_stmt 1               ; persistent_matmul.py:58:60
	v_mad_co_u64_u32 v[22:23], null, s71, s79, v[48:49]
	s_delay_alu instid0(VALU_DEP_1) | instskip(NEXT) | instid1(VALU_DEP_1)
	.loc	1 58 30 is_stmt 0               ; persistent_matmul.py:58:30
	v_ashrrev_i32_e32 v23, 31, v22
	v_lshlrev_b64_e32 v[22:23], 1, v[22:23]
	s_delay_alu instid0(VALU_DEP_1) | instskip(SKIP_1) | instid1(VALU_DEP_2)
	v_add_co_u32 v22, vcc_lo, s30, v22
	s_wait_alu depctr_va_vcc(0)
	v_add_co_ci_u32_e64 v23, null, s31, v23, vcc_lo
	.loc	1 61 24 is_stmt 1               ; persistent_matmul.py:61:24
	global_load_u16 v20, v[22:23], off
.LBB0_41:
	.loc	1 40 35                         ; persistent_matmul.py:40:35
	s_or_b32 s81, s73, 8
	v_dual_mov_b32 v22, 0 :: v_dual_mov_b32 v23, 0
	.loc	1 61 64                         ; persistent_matmul.py:61:64
	s_wait_alu depctr_sa_sdst(0)
	s_cmp_ge_i32 s81, s41
	s_cselect_b32 s0, -1, 0
	s_delay_alu instid0(SALU_CYCLE_1) | instskip(NEXT) | instid1(SALU_CYCLE_1)
	.loc	1 61 24 is_stmt 0               ; persistent_matmul.py:61:24
	s_or_b32 s0, s0, s45
	s_and_b32 vcc_lo, exec_lo, s0
	s_wait_alu depctr_sa_sdst(0)
	s_cbranch_vccnz .LBB0_43
; %bb.42:
	.loc	1 58 60 is_stmt 1               ; persistent_matmul.py:58:60
	v_mad_co_u64_u32 v[23:24], null, s71, s81, v[48:49]
	s_delay_alu instid0(VALU_DEP_1) | instskip(NEXT) | instid1(VALU_DEP_1)
	.loc	1 58 30 is_stmt 0               ; persistent_matmul.py:58:30
	v_ashrrev_i32_e32 v24, 31, v23
	v_lshlrev_b64_e32 v[23:24], 1, v[23:24]
	s_delay_alu instid0(VALU_DEP_1) | instskip(SKIP_1) | instid1(VALU_DEP_2)
	v_add_co_u32 v23, vcc_lo, s30, v23
	s_wait_alu depctr_va_vcc(0)
	v_add_co_ci_u32_e64 v24, null, s31, v24, vcc_lo
	.loc	1 61 24 is_stmt 1               ; persistent_matmul.py:61:24
	global_load_u16 v23, v[23:24], off
.LBB0_43:
	.loc	1 40 35                         ; persistent_matmul.py:40:35
	s_or_b32 s83, s73, 10
	s_delay_alu instid0(SALU_CYCLE_1) | instskip(SKIP_1) | instid1(SALU_CYCLE_1)
	.loc	1 61 64                         ; persistent_matmul.py:61:64
	s_cmp_ge_i32 s83, s41
	s_cselect_b32 s0, -1, 0
	.loc	1 61 24 is_stmt 0               ; persistent_matmul.py:61:24
	s_or_b32 s0, s0, s45
	s_delay_alu instid0(SALU_CYCLE_1)
	s_and_b32 vcc_lo, exec_lo, s0
	s_wait_alu depctr_sa_sdst(0)
	s_cbranch_vccnz .LBB0_45
; %bb.44:
	.loc	1 58 60 is_stmt 1               ; persistent_matmul.py:58:60
	v_mad_co_u64_u32 v[24:25], null, s71, s83, v[48:49]
	s_delay_alu instid0(VALU_DEP_1) | instskip(NEXT) | instid1(VALU_DEP_1)
	.loc	1 58 30 is_stmt 0               ; persistent_matmul.py:58:30
	v_ashrrev_i32_e32 v25, 31, v24
	v_lshlrev_b64_e32 v[24:25], 1, v[24:25]
	s_delay_alu instid0(VALU_DEP_1) | instskip(SKIP_1) | instid1(VALU_DEP_2)
	v_add_co_u32 v24, vcc_lo, s30, v24
	s_wait_alu depctr_va_vcc(0)
	v_add_co_ci_u32_e64 v25, null, s31, v25, vcc_lo
	.loc	1 61 24 is_stmt 1               ; persistent_matmul.py:61:24
	global_load_u16 v22, v[24:25], off
.LBB0_45:
	.loc	1 40 35                         ; persistent_matmul.py:40:35
	s_or_b32 s85, s73, 12
	v_dual_mov_b32 v24, 0 :: v_dual_mov_b32 v25, 0
	.loc	1 61 64                         ; persistent_matmul.py:61:64
	s_wait_alu depctr_sa_sdst(0)
	s_cmp_ge_i32 s85, s41
	s_cselect_b32 s0, -1, 0
	s_delay_alu instid0(SALU_CYCLE_1) | instskip(NEXT) | instid1(SALU_CYCLE_1)
	.loc	1 61 24 is_stmt 0               ; persistent_matmul.py:61:24
	s_or_b32 s0, s0, s45
	s_and_b32 vcc_lo, exec_lo, s0
	s_wait_alu depctr_sa_sdst(0)
	s_cbranch_vccnz .LBB0_47
; %bb.46:
	.loc	1 58 60 is_stmt 1               ; persistent_matmul.py:58:60
	v_mad_co_u64_u32 v[25:26], null, s71, s85, v[48:49]
	s_delay_alu instid0(VALU_DEP_1) | instskip(NEXT) | instid1(VALU_DEP_1)
	.loc	1 58 30 is_stmt 0               ; persistent_matmul.py:58:30
	v_ashrrev_i32_e32 v26, 31, v25
	v_lshlrev_b64_e32 v[25:26], 1, v[25:26]
	s_delay_alu instid0(VALU_DEP_1) | instskip(SKIP_1) | instid1(VALU_DEP_2)
	v_add_co_u32 v25, vcc_lo, s30, v25
	s_wait_alu depctr_va_vcc(0)
	v_add_co_ci_u32_e64 v26, null, s31, v26, vcc_lo
	.loc	1 61 24 is_stmt 1               ; persistent_matmul.py:61:24
	global_load_u16 v25, v[25:26], off
.LBB0_47:
	.loc	1 40 35                         ; persistent_matmul.py:40:35
	s_or_b32 s86, s73, 14
	s_delay_alu instid0(SALU_CYCLE_1) | instskip(SKIP_1) | instid1(SALU_CYCLE_1)
	.loc	1 61 64                         ; persistent_matmul.py:61:64
	s_cmp_ge_i32 s86, s41
	s_cselect_b32 s0, -1, 0
	.loc	1 61 24 is_stmt 0               ; persistent_matmul.py:61:24
	s_or_b32 s0, s0, s45
	s_delay_alu instid0(SALU_CYCLE_1)
	;; [unrolled: 53-line block ×6, first 2 shown]
	s_and_b32 vcc_lo, exec_lo, s0
	s_wait_alu depctr_sa_sdst(0)
	s_cbranch_vccnz .LBB0_65
; %bb.64:
	.loc	1 58 60 is_stmt 1               ; persistent_matmul.py:58:60
	v_mad_co_u64_u32 v[34:35], null, s71, s94, v[48:49]
	s_delay_alu instid0(VALU_DEP_1) | instskip(NEXT) | instid1(VALU_DEP_1)
	.loc	1 58 30 is_stmt 0               ; persistent_matmul.py:58:30
	v_ashrrev_i32_e32 v35, 31, v34
	v_lshlrev_b64_e32 v[34:35], 1, v[34:35]
	s_delay_alu instid0(VALU_DEP_1) | instskip(SKIP_1) | instid1(VALU_DEP_2)
	v_add_co_u32 v34, vcc_lo, s30, v34
	s_wait_alu depctr_va_vcc(0)
	v_add_co_ci_u32_e64 v35, null, s31, v35, vcc_lo
	.loc	1 61 24 is_stmt 1               ; persistent_matmul.py:61:24
	global_load_u16 v32, v[34:35], off
.LBB0_65:
	.loc	1 43 59                         ; persistent_matmul.py:43:59
	s_add_co_i32 s72, s72, -1
	.loc	1 60 24                         ; persistent_matmul.py:60:24
	v_lshlrev_b32_e32 v34, 1, v69
	.loc	1 40 35                         ; persistent_matmul.py:40:35
	s_cmp_eq_u32 s38, 0
	.loc	1 61 24                         ; persistent_matmul.py:61:24
	v_lshlrev_b32_e32 v1, 1, v1
	.loc	1 60 24                         ; persistent_matmul.py:60:24
	s_cselect_b32 s0, 0, 0x90
	v_lshlrev_b32_e32 v71, 3, v0
	v_xor_b32_e32 v34, s0, v34
	v_and_b32_e32 v70, 16, v0
	.loc	1 61 24                         ; persistent_matmul.py:61:24
	v_and_b32_e32 v1, 0xfe, v1
	.loc	1 43 59                         ; persistent_matmul.py:43:59
	s_add_co_i32 s95, s8, -1
	s_mov_b32 s25, s3
	v_xor_b32_e32 v35, 32, v34
	.loc	1 60 24                         ; persistent_matmul.py:60:24
	v_add_nc_u32_e32 v72, 0, v34
	.loc	1 61 24                         ; persistent_matmul.py:61:24
	v_add_nc_u32_e32 v74, 0, v1
	s_mov_b32 s82, 0
	.loc	1 43 59                         ; persistent_matmul.py:43:59
	s_wait_alu depctr_sa_sdst(0)
	s_cmp_lt_i32 s95, 1
	.loc	1 60 24                         ; persistent_matmul.py:60:24
	v_add_nc_u32_e32 v73, 0, v35
	s_wait_loadcnt 0x0
	ds_store_b16 v72, v3
	ds_store_b16 v72, v5 offset:512
	ds_store_b16 v72, v7 offset:1024
	;; [unrolled: 1-line block ×15, first 2 shown]
	.loc	1 61 24                         ; persistent_matmul.py:61:24
	ds_store_b16 v74, v19 offset:4096
	ds_store_b16 v74, v18 offset:4352
	;; [unrolled: 1-line block ×16, first 2 shown]
	s_cbranch_scc1 .LBB0_201
; %bb.66:                               ; %.lr.ph
	.loc	1 0 24 is_stmt 0                ; persistent_matmul.py:0:24
	v_dual_mov_b32 v24, 0 :: v_dual_lshlrev_b32 v1, 6, v70
	v_and_b32_e32 v0, 48, v71
	s_and_b32 s0, s39, 32
	v_lshlrev_b32_e32 v2, 1, v67
	s_wait_alu depctr_sa_sdst(0)
	v_add3_u32 v1, s0, 0, v1
	v_mov_b32_e32 v25, v24
	v_lshl_or_b32 v0, v67, 6, v0
	v_dual_mov_b32 v26, v24 :: v_dual_mov_b32 v29, v24
	v_dual_mov_b32 v27, v24 :: v_dual_mov_b32 v28, v24
	v_mov_b32_e32 v31, v24
	s_delay_alu instid0(VALU_DEP_4) | instskip(SKIP_2) | instid1(VALU_DEP_3)
	v_xor_b32_e32 v0, v0, v70
	v_dual_mov_b32 v30, v24 :: v_dual_mov_b32 v17, v24
	v_dual_mov_b32 v16, v24 :: v_dual_mov_b32 v19, v24
	v_lshl_or_b32 v75, s38, 9, v0
	v_dual_mov_b32 v20, v24 :: v_dual_mov_b32 v21, v24
	v_dual_mov_b32 v23, v24 :: v_dual_add_nc_u32 v76, v1, v2
	s_delay_alu instid0(VALU_DEP_3) | instskip(SKIP_3) | instid1(VALU_DEP_4)
	v_xor_b32_e32 v0, 32, v75
	v_mov_b32_e32 v18, v24
	v_dual_mov_b32 v22, v24 :: v_dual_mov_b32 v9, v24
	v_dual_mov_b32 v8, v24 :: v_dual_mov_b32 v11, v24
	v_dual_mov_b32 v10, v24 :: v_dual_add_nc_u32 v77, 0, v0
	v_dual_mov_b32 v13, v24 :: v_dual_mov_b32 v12, v24
	v_dual_mov_b32 v15, v24 :: v_dual_mov_b32 v14, v24
	v_dual_mov_b32 v1, v24 :: v_dual_mov_b32 v0, v24
	v_dual_mov_b32 v3, v24 :: v_dual_mov_b32 v2, v24
	v_dual_mov_b32 v5, v24 :: v_dual_mov_b32 v4, v24
	v_dual_mov_b32 v7, v24 :: v_dual_mov_b32 v6, v24
	s_mov_b32 s96, ttmp9
	.loc	1 38 28 is_stmt 1               ; persistent_matmul.py:38:28
	s_add_co_i32 s97, ttmp9, 0xfffffed0
	s_mov_b32 s17, 0
	s_mov_b32 s98, 0
	s_branch .LBB0_69
.LBB0_67:                               ; %Flow169
                                        ;   in Loop: Header=BB0_69 Depth=1
	.loc	1 0 28 is_stmt 0                ; persistent_matmul.py:0:28
	s_wait_alu depctr_sa_sdst(0)
	s_or_b32 exec_lo, exec_lo, s0
.LBB0_68:                               ;   in Loop: Header=BB0_69 Depth=1
	.loc	1 60 24 is_stmt 1               ; persistent_matmul.py:60:24
	s_wait_loadcnt 0x0
	s_wait_storecnt 0x0
	s_barrier_signal -1
	.loc	1 43 59                         ; persistent_matmul.py:43:59
	v_cndmask_b32_e64 v24, v24, 0, s99
	v_cndmask_b32_e64 v25, v25, 0, s99
	;; [unrolled: 1-line block ×32, first 2 shown]
	s_add_co_i32 s95, s95, -1
	.loc	1 60 24                         ; persistent_matmul.py:60:24
	s_barrier_wait -1
	.loc	1 43 59                         ; persistent_matmul.py:43:59
	s_wait_alu depctr_sa_sdst(0)
	s_cmp_lg_u32 s95, 0
	.loc	1 60 24                         ; persistent_matmul.py:60:24
	global_inv scope:SCOPE_SE
	ds_store_b16 v72, v79
	ds_store_b16 v72, v81 offset:512
	ds_store_b16 v72, v83 offset:1024
	;; [unrolled: 1-line block ×15, first 2 shown]
	.loc	1 61 24                         ; persistent_matmul.py:61:24
	ds_store_b16 v74, v95 offset:4096
	ds_store_b16 v74, v94 offset:4352
	;; [unrolled: 1-line block ×16, first 2 shown]
	.loc	1 43 59                         ; persistent_matmul.py:43:59
	s_cbranch_scc0 .LBB0_200
.LBB0_69:                               ; =>This Inner Loop Header: Depth=1
	.loc	1 43 59                         ; persistent_matmul.py:43:59
	s_add_co_i32 s0, s82, 1
	s_cmp_eq_u32 s82, s72
	s_cselect_b32 s99, -1, 0
	s_wait_alu depctr_sa_sdst(0)
	s_and_b32 s1, s99, exec_lo
	s_cselect_b32 s82, 0, s0
	s_wait_alu depctr_sa_sdst(0)
	s_cmp_eq_u32 s82, 0
	s_cselect_b32 s0, -1, 0
	s_cmp_lg_u32 s82, 0
	s_cbranch_scc1 .LBB0_71
; %bb.70:                               ;   in Loop: Header=BB0_69 Depth=1
	s_addk_co_i32 s96, 0x130
	s_delay_alu instid0(SALU_CYCLE_1)
.Ltmp37:
	.loc	1 10 26                         ; persistent_matmul.py:10:26 @[ persistent_matmul.py:44:88 ]
	s_abs_i32 s16, s96
	s_ashr_i32 s1, s96, 31
	s_wait_alu depctr_sa_sdst(0)
	s_mul_u64 s[2:3], s[16:17], s[24:25]
	s_xor_b32 s4, s1, s37
	s_wait_alu depctr_sa_sdst(0)
	s_mul_i32 s2, s3, s36
	s_add_co_i32 s5, s3, 1
	s_wait_alu depctr_sa_sdst(0)
	s_sub_co_i32 s2, s16, s2
	s_wait_alu depctr_sa_sdst(0)
	s_sub_co_i32 s6, s2, s36
	s_cmp_ge_u32 s2, s36
	s_cselect_b32 s3, s5, s3
	s_wait_alu depctr_sa_sdst(0)
	s_cselect_b32 s2, s6, s2
	s_add_co_i32 s5, s3, 1
	s_wait_alu depctr_sa_sdst(0)
	s_cmp_ge_u32 s2, s36
	s_cselect_b32 s2, s5, s3
	s_wait_alu depctr_sa_sdst(0)
	s_xor_b32 s2, s2, s4
	s_wait_alu depctr_sa_sdst(0)
	s_sub_co_i32 s2, s2, s4
	.loc	1 11 29                         ; persistent_matmul.py:11:29 @[ persistent_matmul.py:44:88 ]
	s_wait_alu depctr_sa_sdst(0)
	s_lshl_b32 s3, s2, 3
	.loc	1 14 23                         ; persistent_matmul.py:14:23 @[ persistent_matmul.py:44:88 ]
	s_mul_i32 s2, s2, s35
	.loc	1 12 35                         ; persistent_matmul.py:12:35 @[ persistent_matmul.py:44:88 ]
	s_wait_alu depctr_sa_sdst(0)
	s_sub_co_i32 s4, s33, s3
	.loc	1 12 48 is_stmt 0               ; persistent_matmul.py:12:48 @[ persistent_matmul.py:44:88 ]
	s_wait_alu depctr_sa_sdst(0)
	s_min_i32 s4, s4, 8
	.loc	1 13 37 is_stmt 1               ; persistent_matmul.py:13:37 @[ persistent_matmul.py:44:88 ]
	s_wait_alu depctr_sa_sdst(0)
	s_abs_i32 s5, s4
	s_wait_alu depctr_sa_sdst(0)
	s_cvt_f32_u32 s6, s5
	s_sub_co_i32 s7, 0, s5
	s_wait_alu depctr_sa_sdst(0)
	s_delay_alu instid0(SALU_CYCLE_1) | instskip(NEXT) | instid1(TRANS32_DEP_1)
	v_rcp_iflag_f32_e32 v32, s6
	v_readfirstlane_b32 s6, v32
	s_mul_f32 s6, s6, 0x4f7ffffe
	s_wait_alu depctr_sa_sdst(0)
	s_delay_alu instid0(SALU_CYCLE_2) | instskip(SKIP_1) | instid1(SALU_CYCLE_2)
	s_cvt_u32_f32 s6, s6
	s_wait_alu depctr_sa_sdst(0)
	s_mul_i32 s7, s7, s6
	s_wait_alu depctr_sa_sdst(0)
	s_mul_hi_u32 s7, s6, s7
	s_wait_alu depctr_sa_sdst(0)
	s_add_co_i32 s6, s6, s7
	s_wait_alu depctr_sa_sdst(0)
	s_mul_hi_u32 s7, s16, s6
	s_wait_alu depctr_sa_sdst(0)
	s_mul_i32 s7, s7, s5
	s_wait_alu depctr_sa_sdst(0)
	s_sub_co_i32 s7, s16, s7
	s_wait_alu depctr_sa_sdst(0)
	s_sub_co_i32 s8, s7, s5
	s_cmp_ge_u32 s7, s5
	s_wait_alu depctr_sa_sdst(0)
	s_cselect_b32 s7, s8, s7
	s_wait_alu depctr_sa_sdst(0)
	s_sub_co_i32 s8, s7, s5
	s_cmp_ge_u32 s7, s5
	s_wait_alu depctr_sa_sdst(0)
	s_cselect_b32 s7, s8, s7
	.loc	1 14 23                         ; persistent_matmul.py:14:23 @[ persistent_matmul.py:44:88 ]
	s_sub_co_i32 s2, s96, s2
	.loc	1 13 37                         ; persistent_matmul.py:13:37 @[ persistent_matmul.py:44:88 ]
	s_wait_alu depctr_sa_sdst(0)
	s_xor_b32 s7, s7, s1
	.loc	1 14 44                         ; persistent_matmul.py:14:44 @[ persistent_matmul.py:44:88 ]
	s_xor_b32 s4, s2, s4
	s_abs_i32 s2, s2
	.loc	1 13 37                         ; persistent_matmul.py:13:37 @[ persistent_matmul.py:44:88 ]
	s_wait_alu depctr_sa_sdst(0)
	s_sub_co_i32 s1, s7, s1
	.loc	1 14 44                         ; persistent_matmul.py:14:44 @[ persistent_matmul.py:44:88 ]
	s_mul_hi_u32 s6, s2, s6
	.loc	1 13 27                         ; persistent_matmul.py:13:27 @[ persistent_matmul.py:44:88 ]
	s_wait_alu depctr_sa_sdst(0)
	s_add_co_i32 s3, s3, s1
	.loc	1 14 44                         ; persistent_matmul.py:14:44 @[ persistent_matmul.py:44:88 ]
	s_mul_i32 s7, s6, s5
	s_ashr_i32 s4, s4, 31
	s_wait_alu depctr_sa_sdst(0)
	s_sub_co_i32 s1, s2, s7
	s_add_co_i32 s2, s6, 1
	s_wait_alu depctr_sa_sdst(0)
	s_sub_co_i32 s7, s1, s5
	s_cmp_ge_u32 s1, s5
	s_cselect_b32 s2, s2, s6
	s_wait_alu depctr_sa_sdst(0)
	s_cselect_b32 s1, s7, s1
	s_add_co_i32 s6, s2, 1
	s_wait_alu depctr_sa_sdst(0)
	s_cmp_ge_u32 s1, s5
	s_cselect_b32 s1, s6, s2
.Ltmp38:
	.loc	1 45 26                         ; persistent_matmul.py:45:26
	s_lshl_b32 s2, s3, 6
.Ltmp39:
	.loc	1 14 44                         ; persistent_matmul.py:14:44 @[ persistent_matmul.py:44:88 ]
	s_wait_alu depctr_sa_sdst(0)
	s_xor_b32 s1, s1, s4
.Ltmp40:
	.loc	1 47 28                         ; persistent_matmul.py:47:28
	s_or_b32 s3, s2, s42
	s_or_b32 s5, s2, s43
	;; [unrolled: 1-line block ×16, first 2 shown]
.Ltmp41:
	.loc	1 14 44                         ; persistent_matmul.py:14:44 @[ persistent_matmul.py:44:88 ]
	s_wait_alu depctr_sa_sdst(0)
	s_sub_co_i32 s1, s1, s4
.Ltmp42:
	.loc	1 49 37                         ; persistent_matmul.py:49:37
	s_cmp_lt_i32 s3, s22
	.loc	1 48 28                         ; persistent_matmul.py:48:28
	s_wait_alu depctr_sa_sdst(0)
	v_lshl_or_b32 v32, s1, 6, v69
	.loc	1 49 49                         ; persistent_matmul.py:49:49
	s_cselect_b32 s3, s3, 0
	.loc	1 49 37 is_stmt 0               ; persistent_matmul.py:49:37
	s_cmp_lt_i32 s5, s22
	.loc	1 57 49 is_stmt 1               ; persistent_matmul.py:57:49
	s_wait_alu depctr_sa_sdst(0)
	s_mul_i32 s48, s3, s26
	.loc	1 49 49                         ; persistent_matmul.py:49:49
	s_cselect_b32 s1, s5, 0
	.loc	1 49 37 is_stmt 0               ; persistent_matmul.py:49:37
	s_cmp_lt_i32 s6, s22
	.loc	1 57 49 is_stmt 1               ; persistent_matmul.py:57:49
	s_wait_alu depctr_sa_sdst(0)
	s_mul_i32 s50, s1, s26
	;; [unrolled: 7-line block ×5, first 2 shown]
	.loc	1 49 49                         ; persistent_matmul.py:49:49
	s_cselect_b32 s1, s9, 0
	.loc	1 49 37 is_stmt 0               ; persistent_matmul.py:49:37
	s_cmp_lt_i32 s10, s22
	.loc	1 50 37 is_stmt 1               ; persistent_matmul.py:50:37
	v_cmp_gt_i32_e32 vcc_lo, s23, v32
	.loc	1 49 49                         ; persistent_matmul.py:49:49
	s_cselect_b32 s4, s10, 0
	.loc	1 49 37 is_stmt 0               ; persistent_matmul.py:49:37
	s_cmp_lt_i32 s11, s22
	.loc	1 57 49 is_stmt 1               ; persistent_matmul.py:57:49
	s_wait_alu depctr_sa_sdst(0)
	s_mul_i32 s59, s1, s26
	.loc	1 49 49                         ; persistent_matmul.py:49:49
	s_cselect_b32 s3, s11, 0
	.loc	1 49 37 is_stmt 0               ; persistent_matmul.py:49:37
	s_cmp_lt_i32 s12, s22
	.loc	1 57 49 is_stmt 1               ; persistent_matmul.py:57:49
	s_mul_i32 s62, s4, s26
	.loc	1 49 49                         ; persistent_matmul.py:49:49
	s_cselect_b32 s1, s12, 0
	.loc	1 49 37 is_stmt 0               ; persistent_matmul.py:49:37
	s_cmp_lt_i32 s13, s22
	.loc	1 57 49 is_stmt 1               ; persistent_matmul.py:57:49
	s_wait_alu depctr_sa_sdst(0)
	s_mul_i32 s63, s3, s26
	.loc	1 49 49                         ; persistent_matmul.py:49:49
	s_cselect_b32 s4, s13, 0
	.loc	1 49 37 is_stmt 0               ; persistent_matmul.py:49:37
	s_cmp_lt_i32 s14, s22
	.loc	1 50 49 is_stmt 1               ; persistent_matmul.py:50:49
	s_wait_alu depctr_va_vcc(0)
	v_cndmask_b32_e32 v32, 0, v32, vcc_lo
	.loc	1 49 49                         ; persistent_matmul.py:49:49
	s_cselect_b32 s3, s14, 0
	.loc	1 49 37 is_stmt 0               ; persistent_matmul.py:49:37
	s_cmp_lt_i32 s15, s22
	.loc	1 57 49 is_stmt 1               ; persistent_matmul.py:57:49
	s_mul_i32 s65, s1, s26
	.loc	1 49 49                         ; persistent_matmul.py:49:49
	s_cselect_b32 s1, s15, 0
	.loc	1 49 37 is_stmt 0               ; persistent_matmul.py:49:37
	s_cmp_lt_i32 s16, s22
	.loc	1 57 49 is_stmt 1               ; persistent_matmul.py:57:49
	s_wait_alu depctr_sa_sdst(0)
	s_mul_i32 s67, s4, s26
	.loc	1 49 49                         ; persistent_matmul.py:49:49
	s_cselect_b32 s4, s16, 0
	.loc	1 49 37 is_stmt 0               ; persistent_matmul.py:49:37
	s_cmp_lt_i32 s74, s22
	.loc	1 58 79 is_stmt 1               ; persistent_matmul.py:58:79
	v_mul_lo_u32 v48, v32, s68
	.loc	1 57 49                         ; persistent_matmul.py:57:49
	s_mul_i32 s70, s3, s26
	.loc	1 49 49                         ; persistent_matmul.py:49:49
	s_cselect_b32 s3, s74, 0
	.loc	1 49 37 is_stmt 0               ; persistent_matmul.py:49:37
	s_cmp_lt_i32 s76, s22
	.loc	1 57 49 is_stmt 1               ; persistent_matmul.py:57:49
	s_mul_i32 s74, s1, s26
	.loc	1 49 49                         ; persistent_matmul.py:49:49
	s_cselect_b32 s1, s76, 0
	.loc	1 49 37 is_stmt 0               ; persistent_matmul.py:49:37
	s_cmp_lt_i32 s2, s22
	.loc	1 57 49 is_stmt 1               ; persistent_matmul.py:57:49
	s_wait_alu depctr_sa_sdst(0)
	s_mul_i32 s76, s4, s26
	.loc	1 49 49                         ; persistent_matmul.py:49:49
	s_cselect_b32 s2, s2, 0
	.loc	1 57 49                         ; persistent_matmul.py:57:49
	s_mul_i32 s78, s3, s26
	s_mul_i32 s80, s1, s26
	s_wait_alu depctr_sa_sdst(0)
	s_mul_i32 s84, s2, s26
.LBB0_71:                               ;   in Loop: Header=BB0_69 Depth=1
	.loc	1 43 59                         ; persistent_matmul.py:43:59
	s_add_co_i32 s1, s98, 1
	s_wait_alu depctr_sa_sdst(0)
	s_and_b32 s0, s0, exec_lo
	s_cselect_b32 s98, 0, s1
	v_dual_mov_b32 v78, 0 :: v_dual_mov_b32 v79, 0
	.loc	1 56 26                         ; persistent_matmul.py:56:26
	s_wait_alu depctr_sa_sdst(0)
	s_lshl_b32 s1, s98, 5
	.loc	1 56 41 is_stmt 0               ; persistent_matmul.py:56:41
	s_wait_alu depctr_sa_sdst(0)
	v_or_b32_e32 v32, s1, v68
	.loc	1 60 68 is_stmt 1               ; persistent_matmul.py:60:68
	s_sub_co_i32 s2, s41, s1
	.loc	1 60 64 is_stmt 0               ; persistent_matmul.py:60:64
	s_wait_alu depctr_sa_sdst(0)
	v_cmp_gt_i32_e32 vcc_lo, s2, v68
	s_delay_alu instid0(VALU_DEP_2)
	.loc	1 57 79 is_stmt 1               ; persistent_matmul.py:57:79
	v_mul_lo_u32 v32, v32, s27
	.loc	1 60 24                         ; persistent_matmul.py:60:24
	s_and_saveexec_b32 s3, vcc_lo
	s_cbranch_execz .LBB0_73
; %bb.72:                               ;   in Loop: Header=BB0_69 Depth=1
	.loc	1 0 24 is_stmt 0                ; persistent_matmul.py:0:24
	s_delay_alu instid0(VALU_DEP_1) | instskip(NEXT) | instid1(VALU_DEP_1)
	v_add_nc_u32_e32 v33, s48, v32
	v_ashrrev_i32_e32 v34, 31, v33
	s_delay_alu instid0(VALU_DEP_1) | instskip(NEXT) | instid1(VALU_DEP_1)
	v_lshlrev_b64_e32 v[33:34], 1, v[33:34]
	v_add_co_u32 v33, s0, s28, v33
	s_wait_alu depctr_va_sdst(0)
	s_delay_alu instid0(VALU_DEP_2)
	v_add_co_ci_u32_e64 v34, null, s29, v34, s0
	.loc	1 60 24                         ; persistent_matmul.py:60:24
	global_load_u16 v79, v[33:34], off
.LBB0_73:                               ;   in Loop: Header=BB0_69 Depth=1
	.loc	1 0 24                          ; persistent_matmul.py:0:24
	s_wait_alu depctr_sa_sdst(0)
	s_or_b32 exec_lo, exec_lo, s3
	.loc	1 60 24                         ; persistent_matmul.py:60:24
	s_and_saveexec_b32 s3, vcc_lo
	s_cbranch_execz .LBB0_75
; %bb.74:                               ;   in Loop: Header=BB0_69 Depth=1
	.loc	1 0 24                          ; persistent_matmul.py:0:24
	s_delay_alu instid0(VALU_DEP_1) | instskip(NEXT) | instid1(VALU_DEP_1)
	.loc	1 57 61 is_stmt 1               ; persistent_matmul.py:57:61
	v_add_nc_u32_e32 v33, s50, v32
	.loc	1 57 30 is_stmt 0               ; persistent_matmul.py:57:30
	v_ashrrev_i32_e32 v34, 31, v33
	s_delay_alu instid0(VALU_DEP_1) | instskip(NEXT) | instid1(VALU_DEP_1)
	v_lshlrev_b64_e32 v[33:34], 1, v[33:34]
	v_add_co_u32 v33, s0, s28, v33
	s_wait_alu depctr_va_sdst(0)
	s_delay_alu instid0(VALU_DEP_2)
	v_add_co_ci_u32_e64 v34, null, s29, v34, s0
	.loc	1 60 24 is_stmt 1               ; persistent_matmul.py:60:24
	global_load_u16 v78, v[33:34], off
.LBB0_75:                               ;   in Loop: Header=BB0_69 Depth=1
	.loc	1 0 24 is_stmt 0                ; persistent_matmul.py:0:24
	s_wait_alu depctr_sa_sdst(0)
	s_or_b32 exec_lo, exec_lo, s3
	v_dual_mov_b32 v80, 0 :: v_dual_mov_b32 v81, 0
	.loc	1 60 24                         ; persistent_matmul.py:60:24
	s_and_saveexec_b32 s3, vcc_lo
	s_cbranch_execz .LBB0_77
; %bb.76:                               ;   in Loop: Header=BB0_69 Depth=1
	.loc	1 57 61 is_stmt 1               ; persistent_matmul.py:57:61
	v_add_nc_u32_e32 v33, s53, v32
	s_delay_alu instid0(VALU_DEP_1) | instskip(NEXT) | instid1(VALU_DEP_1)
	.loc	1 57 30 is_stmt 0               ; persistent_matmul.py:57:30
	v_ashrrev_i32_e32 v34, 31, v33
	v_lshlrev_b64_e32 v[33:34], 1, v[33:34]
	s_delay_alu instid0(VALU_DEP_1) | instskip(SKIP_1) | instid1(VALU_DEP_2)
	v_add_co_u32 v33, s0, s28, v33
	s_wait_alu depctr_va_sdst(0)
	v_add_co_ci_u32_e64 v34, null, s29, v34, s0
	.loc	1 60 24 is_stmt 1               ; persistent_matmul.py:60:24
	global_load_u16 v81, v[33:34], off
.LBB0_77:                               ;   in Loop: Header=BB0_69 Depth=1
	.loc	1 0 24 is_stmt 0                ; persistent_matmul.py:0:24
	s_wait_alu depctr_sa_sdst(0)
	s_or_b32 exec_lo, exec_lo, s3
	.loc	1 60 24                         ; persistent_matmul.py:60:24
	s_and_saveexec_b32 s3, vcc_lo
	s_cbranch_execz .LBB0_79
; %bb.78:                               ;   in Loop: Header=BB0_69 Depth=1
	.loc	1 57 61 is_stmt 1               ; persistent_matmul.py:57:61
	v_add_nc_u32_e32 v33, s55, v32
	s_delay_alu instid0(VALU_DEP_1) | instskip(NEXT) | instid1(VALU_DEP_1)
	.loc	1 57 30 is_stmt 0               ; persistent_matmul.py:57:30
	v_ashrrev_i32_e32 v34, 31, v33
	v_lshlrev_b64_e32 v[33:34], 1, v[33:34]
	s_delay_alu instid0(VALU_DEP_1) | instskip(SKIP_1) | instid1(VALU_DEP_2)
	v_add_co_u32 v33, s0, s28, v33
	s_wait_alu depctr_va_sdst(0)
	v_add_co_ci_u32_e64 v34, null, s29, v34, s0
	.loc	1 60 24 is_stmt 1               ; persistent_matmul.py:60:24
	global_load_u16 v80, v[33:34], off
.LBB0_79:                               ;   in Loop: Header=BB0_69 Depth=1
	.loc	1 0 24 is_stmt 0                ; persistent_matmul.py:0:24
	s_wait_alu depctr_sa_sdst(0)
	s_or_b32 exec_lo, exec_lo, s3
	v_dual_mov_b32 v82, 0 :: v_dual_mov_b32 v83, 0
	.loc	1 60 24                         ; persistent_matmul.py:60:24
	s_and_saveexec_b32 s3, vcc_lo
	s_cbranch_execz .LBB0_81
; %bb.80:                               ;   in Loop: Header=BB0_69 Depth=1
	.loc	1 57 61 is_stmt 1               ; persistent_matmul.py:57:61
	v_add_nc_u32_e32 v33, s57, v32
	s_delay_alu instid0(VALU_DEP_1) | instskip(NEXT) | instid1(VALU_DEP_1)
	.loc	1 57 30 is_stmt 0               ; persistent_matmul.py:57:30
	v_ashrrev_i32_e32 v34, 31, v33
	v_lshlrev_b64_e32 v[33:34], 1, v[33:34]
	s_delay_alu instid0(VALU_DEP_1) | instskip(SKIP_1) | instid1(VALU_DEP_2)
	v_add_co_u32 v33, s0, s28, v33
	s_wait_alu depctr_va_sdst(0)
	v_add_co_ci_u32_e64 v34, null, s29, v34, s0
	.loc	1 60 24 is_stmt 1               ; persistent_matmul.py:60:24
	global_load_u16 v83, v[33:34], off
.LBB0_81:                               ;   in Loop: Header=BB0_69 Depth=1
	.loc	1 0 24 is_stmt 0                ; persistent_matmul.py:0:24
	s_wait_alu depctr_sa_sdst(0)
	s_or_b32 exec_lo, exec_lo, s3
	.loc	1 60 24                         ; persistent_matmul.py:60:24
	s_and_saveexec_b32 s3, vcc_lo
	s_cbranch_execz .LBB0_83
; %bb.82:                               ;   in Loop: Header=BB0_69 Depth=1
	.loc	1 57 61 is_stmt 1               ; persistent_matmul.py:57:61
	v_add_nc_u32_e32 v33, s59, v32
	s_delay_alu instid0(VALU_DEP_1) | instskip(NEXT) | instid1(VALU_DEP_1)
	.loc	1 57 30 is_stmt 0               ; persistent_matmul.py:57:30
	v_ashrrev_i32_e32 v34, 31, v33
	v_lshlrev_b64_e32 v[33:34], 1, v[33:34]
	s_delay_alu instid0(VALU_DEP_1) | instskip(SKIP_1) | instid1(VALU_DEP_2)
	v_add_co_u32 v33, s0, s28, v33
	s_wait_alu depctr_va_sdst(0)
	v_add_co_ci_u32_e64 v34, null, s29, v34, s0
	.loc	1 60 24 is_stmt 1               ; persistent_matmul.py:60:24
	global_load_u16 v82, v[33:34], off
.LBB0_83:                               ;   in Loop: Header=BB0_69 Depth=1
	;; [unrolled: 41-line block ×6, first 2 shown]
	.loc	1 0 24 is_stmt 0                ; persistent_matmul.py:0:24
	s_wait_alu depctr_sa_sdst(0)
	s_or_b32 exec_lo, exec_lo, s3
	v_dual_mov_b32 v92, 0 :: v_dual_mov_b32 v93, 0
	.loc	1 60 24                         ; persistent_matmul.py:60:24
	s_and_saveexec_b32 s3, vcc_lo
	s_cbranch_execz .LBB0_101
; %bb.100:                              ;   in Loop: Header=BB0_69 Depth=1
	.loc	1 57 61 is_stmt 1               ; persistent_matmul.py:57:61
	v_add_nc_u32_e32 v33, s80, v32
	s_delay_alu instid0(VALU_DEP_1) | instskip(NEXT) | instid1(VALU_DEP_1)
	.loc	1 57 30 is_stmt 0               ; persistent_matmul.py:57:30
	v_ashrrev_i32_e32 v34, 31, v33
	v_lshlrev_b64_e32 v[33:34], 1, v[33:34]
	s_delay_alu instid0(VALU_DEP_1) | instskip(SKIP_1) | instid1(VALU_DEP_2)
	v_add_co_u32 v33, s0, s28, v33
	s_wait_alu depctr_va_sdst(0)
	v_add_co_ci_u32_e64 v34, null, s29, v34, s0
	.loc	1 60 24 is_stmt 1               ; persistent_matmul.py:60:24
	global_load_u16 v93, v[33:34], off
.LBB0_101:                              ;   in Loop: Header=BB0_69 Depth=1
	.loc	1 0 24 is_stmt 0                ; persistent_matmul.py:0:24
	s_wait_alu depctr_sa_sdst(0)
	s_or_b32 exec_lo, exec_lo, s3
	.loc	1 60 24                         ; persistent_matmul.py:60:24
	s_and_saveexec_b32 s0, vcc_lo
	s_cbranch_execz .LBB0_103
; %bb.102:                              ;   in Loop: Header=BB0_69 Depth=1
	.loc	1 57 61 is_stmt 1               ; persistent_matmul.py:57:61
	v_add_nc_u32_e32 v32, s84, v32
	s_delay_alu instid0(VALU_DEP_1) | instskip(NEXT) | instid1(VALU_DEP_1)
	.loc	1 57 30 is_stmt 0               ; persistent_matmul.py:57:30
	v_ashrrev_i32_e32 v33, 31, v32
	v_lshlrev_b64_e32 v[32:33], 1, v[32:33]
	s_delay_alu instid0(VALU_DEP_1) | instskip(SKIP_1) | instid1(VALU_DEP_2)
	v_add_co_u32 v32, vcc_lo, s28, v32
	s_wait_alu depctr_va_vcc(0)
	v_add_co_ci_u32_e64 v33, null, s29, v33, vcc_lo
	.loc	1 60 24 is_stmt 1               ; persistent_matmul.py:60:24
	global_load_u16 v92, v[32:33], off
.LBB0_103:                              ;   in Loop: Header=BB0_69 Depth=1
	.loc	1 0 24 is_stmt 0                ; persistent_matmul.py:0:24
	s_wait_alu depctr_sa_sdst(0)
	s_or_b32 exec_lo, exec_lo, s0
	.loc	1 60 24                         ; persistent_matmul.py:60:24
	s_wait_loadcnt_dscnt 0x0
	s_barrier_signal -1
	v_dual_mov_b32 v95, 0 :: v_dual_add_nc_u32 v32, 0, v75
	v_mov_b32_e32 v94, 0
	.loc	1 61 64 is_stmt 1               ; persistent_matmul.py:61:64
	s_cmp_ge_i32 s73, s2
	.loc	1 60 24                         ; persistent_matmul.py:60:24
	s_barrier_wait -1
	global_inv scope:SCOPE_SE
	ds_load_b128 v[40:43], v32
	ds_load_b128 v[44:47], v32 offset:2048
	ds_load_b128 v[32:35], v77
	ds_load_b128 v[36:39], v77 offset:2048
	.loc	1 61 24                         ; persistent_matmul.py:61:24
	s_cbranch_scc0 .LBB0_169
; %bb.104:                              ;   in Loop: Header=BB0_69 Depth=1
	.loc	1 61 64 is_stmt 0               ; persistent_matmul.py:61:64
	s_cmp_ge_i32 s75, s2
	.loc	1 61 24                         ; persistent_matmul.py:61:24
	s_cbranch_scc0 .LBB0_170
.LBB0_105:                              ;   in Loop: Header=BB0_69 Depth=1
	.loc	1 0 24                          ; persistent_matmul.py:0:24
	v_dual_mov_b32 v96, 0 :: v_dual_mov_b32 v97, 0
	.loc	1 61 64                         ; persistent_matmul.py:61:64
	s_cmp_ge_i32 s77, s2
	.loc	1 61 24                         ; persistent_matmul.py:61:24
	s_cbranch_scc0 .LBB0_171
.LBB0_106:                              ;   in Loop: Header=BB0_69 Depth=1
	.loc	1 61 64                         ; persistent_matmul.py:61:64
	s_cmp_ge_i32 s79, s2
	.loc	1 61 24                         ; persistent_matmul.py:61:24
	s_cbranch_scc0 .LBB0_172
.LBB0_107:                              ;   in Loop: Header=BB0_69 Depth=1
	.loc	1 0 24                          ; persistent_matmul.py:0:24
	v_dual_mov_b32 v98, 0 :: v_dual_mov_b32 v99, 0
	.loc	1 61 64                         ; persistent_matmul.py:61:64
	s_cmp_ge_i32 s81, s2
	.loc	1 61 24                         ; persistent_matmul.py:61:24
	s_cbranch_scc0 .LBB0_173
.LBB0_108:                              ;   in Loop: Header=BB0_69 Depth=1
	.loc	1 61 64                         ; persistent_matmul.py:61:64
	s_cmp_ge_i32 s83, s2
	.loc	1 61 24                         ; persistent_matmul.py:61:24
	s_cbranch_scc0 .LBB0_174
.LBB0_109:                              ;   in Loop: Header=BB0_69 Depth=1
	.loc	1 0 24                          ; persistent_matmul.py:0:24
	v_dual_mov_b32 v100, 0 :: v_dual_mov_b32 v101, 0
	.loc	1 61 64                         ; persistent_matmul.py:61:64
	s_cmp_ge_i32 s85, s2
	.loc	1 61 24                         ; persistent_matmul.py:61:24
	s_cbranch_scc0 .LBB0_175
.LBB0_110:                              ;   in Loop: Header=BB0_69 Depth=1
	.loc	1 61 64                         ; persistent_matmul.py:61:64
	s_cmp_ge_i32 s86, s2
	.loc	1 61 24                         ; persistent_matmul.py:61:24
	s_cbranch_scc0 .LBB0_176
.LBB0_111:                              ;   in Loop: Header=BB0_69 Depth=1
	.loc	1 0 24                          ; persistent_matmul.py:0:24
	v_dual_mov_b32 v102, 0 :: v_dual_mov_b32 v103, 0
	.loc	1 61 64                         ; persistent_matmul.py:61:64
	s_cmp_ge_i32 s87, s2
	.loc	1 61 24                         ; persistent_matmul.py:61:24
	s_cbranch_scc0 .LBB0_177
.LBB0_112:                              ;   in Loop: Header=BB0_69 Depth=1
	.loc	1 61 64                         ; persistent_matmul.py:61:64
	s_cmp_ge_i32 s88, s2
	.loc	1 61 24                         ; persistent_matmul.py:61:24
	s_cbranch_scc0 .LBB0_178
.LBB0_113:                              ;   in Loop: Header=BB0_69 Depth=1
	.loc	1 0 24                          ; persistent_matmul.py:0:24
	v_dual_mov_b32 v104, 0 :: v_dual_mov_b32 v105, 0
	.loc	1 61 64                         ; persistent_matmul.py:61:64
	s_cmp_ge_i32 s89, s2
	.loc	1 61 24                         ; persistent_matmul.py:61:24
	s_cbranch_scc0 .LBB0_179
.LBB0_114:                              ;   in Loop: Header=BB0_69 Depth=1
	.loc	1 61 64                         ; persistent_matmul.py:61:64
	s_cmp_ge_i32 s90, s2
	.loc	1 61 24                         ; persistent_matmul.py:61:24
	s_cbranch_scc0 .LBB0_180
.LBB0_115:                              ;   in Loop: Header=BB0_69 Depth=1
	.loc	1 0 24                          ; persistent_matmul.py:0:24
	v_dual_mov_b32 v106, 0 :: v_dual_mov_b32 v107, 0
	.loc	1 61 64                         ; persistent_matmul.py:61:64
	s_cmp_ge_i32 s91, s2
	.loc	1 61 24                         ; persistent_matmul.py:61:24
	s_cbranch_scc0 .LBB0_181
.LBB0_116:                              ;   in Loop: Header=BB0_69 Depth=1
	.loc	1 61 64                         ; persistent_matmul.py:61:64
	s_cmp_ge_i32 s92, s2
	.loc	1 61 24                         ; persistent_matmul.py:61:24
	s_cbranch_scc0 .LBB0_182
.LBB0_117:                              ;   in Loop: Header=BB0_69 Depth=1
	.loc	1 0 24                          ; persistent_matmul.py:0:24
	v_dual_mov_b32 v108, 0 :: v_dual_mov_b32 v109, 0
	.loc	1 61 64                         ; persistent_matmul.py:61:64
	s_cmp_ge_i32 s93, s2
	.loc	1 61 24                         ; persistent_matmul.py:61:24
	s_cbranch_scc0 .LBB0_183
.LBB0_118:                              ;   in Loop: Header=BB0_69 Depth=1
	.loc	1 61 64                         ; persistent_matmul.py:61:64
	s_cmp_ge_i32 s94, s2
	.loc	1 61 24                         ; persistent_matmul.py:61:24
	s_cbranch_scc1 .LBB0_120
.LBB0_119:                              ;   in Loop: Header=BB0_69 Depth=1
	.loc	1 56 41 is_stmt 1               ; persistent_matmul.py:56:41
	s_or_b32 s0, s1, s94
	.loc	1 58 60                         ; persistent_matmul.py:58:60
	s_wait_alu depctr_sa_sdst(0)
	v_mad_co_u64_u32 v[110:111], null, s0, s71, v[48:49]
	s_delay_alu instid0(VALU_DEP_1) | instskip(NEXT) | instid1(VALU_DEP_1)
	.loc	1 58 30 is_stmt 0               ; persistent_matmul.py:58:30
	v_ashrrev_i32_e32 v111, 31, v110
	v_lshlrev_b64_e32 v[110:111], 1, v[110:111]
	s_delay_alu instid0(VALU_DEP_1) | instskip(SKIP_1) | instid1(VALU_DEP_2)
	v_add_co_u32 v110, vcc_lo, s30, v110
	s_wait_alu depctr_va_vcc(0)
	v_add_co_ci_u32_e64 v111, null, s31, v111, vcc_lo
	.loc	1 61 24 is_stmt 1               ; persistent_matmul.py:61:24
	global_load_u16 v108, v[110:111], off
.LBB0_120:                              ;   in Loop: Header=BB0_69 Depth=1
	ds_load_u16 v111, v76 offset:6464
	ds_load_u16 v115, v76 offset:4352
	;; [unrolled: 1-line block ×16, first 2 shown]
	.loc	1 43 59                         ; persistent_matmul.py:43:59
	s_and_not1_b32 vcc_lo, exec_lo, s99
	.loc	1 61 24                         ; persistent_matmul.py:61:24
	s_wait_dscnt 0xb
	ds_load_u16_d16_hi v120, v76 offset:6784
	ds_load_u16_d16_hi v111, v76 offset:6592
	;; [unrolled: 1-line block ×3, first 2 shown]
	s_wait_dscnt 0xb
	ds_load_u16_d16_hi v114, v76 offset:4224
	s_wait_dscnt 0xb
	ds_load_u16_d16_hi v122, v76 offset:4288
	ds_load_u16_d16_hi v116, v76 offset:4736
	;; [unrolled: 1-line block ×3, first 2 shown]
	s_wait_dscnt 0xd
	ds_load_u16_d16_hi v110, v76 offset:6336
	s_wait_dscnt 0xd
	ds_load_u16_d16_hi v125, v76 offset:5056
	;; [unrolled: 2-line block ×4, first 2 shown]
	ds_load_u16_d16_hi v118, v76 offset:6272
	ds_load_u16_d16_hi v119, v76 offset:6528
	s_wait_dscnt 0xf
	ds_load_u16_d16_hi v121, v76 offset:7040
	s_wait_dscnt 0xf
	;; [unrolled: 2-line block ×3, first 2 shown]
	ds_load_u16_d16_hi v113, v76 offset:7104
	.loc	1 62 39                         ; persistent_matmul.py:62:39
	s_wait_dscnt 0x9
	v_wmma_f32_16x16x16_f16 v[24:31], v[114:117], v[40:43], v[24:31]
	v_wmma_f32_16x16x16_f16 v[8:15], v[114:117], v[44:47], v[8:15]
	s_wait_dscnt 0x5
	v_wmma_f32_16x16x16_f16 v[16:23], v[122:125], v[40:43], v[16:23]
	v_wmma_f32_16x16x16_f16 v[0:7], v[122:125], v[44:47], v[0:7]
	;; [unrolled: 3-line block ×4, first 2 shown]
	.loc	1 43 59                         ; persistent_matmul.py:43:59
	s_wait_alu depctr_sa_sdst(0)
	s_cbranch_vccnz .LBB0_68
; %bb.121:                              ;   in Loop: Header=BB0_69 Depth=1
	.loc	1 64 21                         ; persistent_matmul.py:64:21
	s_addk_co_i32 s97, 0x130
	s_delay_alu instid0(SALU_CYCLE_1)
.Ltmp43:
	.loc	1 10 26                         ; persistent_matmul.py:10:26 @[ persistent_matmul.py:65:90 ]
	s_abs_i32 s16, s97
	s_wait_alu depctr_sa_sdst(0)
	s_mul_u64 s[0:1], s[16:17], s[24:25]
	s_ashr_i32 s0, s97, 31
	s_wait_alu depctr_sa_sdst(0)
	s_mul_i32 s2, s1, s36
	s_xor_b32 s3, s0, s37
	s_wait_alu depctr_sa_sdst(0)
	s_sub_co_i32 s2, s16, s2
	s_add_co_i32 s4, s1, 1
	s_wait_alu depctr_sa_sdst(0)
	s_sub_co_i32 s5, s2, s36
	s_cmp_ge_u32 s2, s36
	s_cselect_b32 s1, s4, s1
	s_wait_alu depctr_sa_sdst(0)
	s_cselect_b32 s2, s5, s2
	s_add_co_i32 s4, s1, 1
	s_wait_alu depctr_sa_sdst(0)
	s_cmp_ge_u32 s2, s36
	s_cselect_b32 s1, s4, s1
	s_wait_alu depctr_sa_sdst(0)
	s_xor_b32 s1, s1, s3
	s_wait_alu depctr_sa_sdst(0)
	s_sub_co_i32 s1, s1, s3
	.loc	1 11 29                         ; persistent_matmul.py:11:29 @[ persistent_matmul.py:65:90 ]
	s_wait_alu depctr_sa_sdst(0)
	s_lshl_b32 s2, s1, 3
	.loc	1 14 23                         ; persistent_matmul.py:14:23 @[ persistent_matmul.py:65:90 ]
	s_mul_i32 s1, s1, s35
	.loc	1 12 35                         ; persistent_matmul.py:12:35 @[ persistent_matmul.py:65:90 ]
	s_wait_alu depctr_sa_sdst(0)
	s_sub_co_i32 s3, s33, s2
	.loc	1 12 48 is_stmt 0               ; persistent_matmul.py:12:48 @[ persistent_matmul.py:65:90 ]
	s_wait_alu depctr_sa_sdst(0)
	s_min_i32 s3, s3, 8
	.loc	1 13 37 is_stmt 1               ; persistent_matmul.py:13:37 @[ persistent_matmul.py:65:90 ]
	s_wait_alu depctr_sa_sdst(0)
	s_abs_i32 s4, s3
	s_wait_alu depctr_sa_sdst(0)
	s_cvt_f32_u32 s5, s4
	s_sub_co_i32 s6, 0, s4
	s_wait_alu depctr_sa_sdst(0)
	s_delay_alu instid0(SALU_CYCLE_1) | instskip(NEXT) | instid1(TRANS32_DEP_1)
	v_rcp_iflag_f32_e32 v32, s5
	v_readfirstlane_b32 s5, v32
	s_mul_f32 s5, s5, 0x4f7ffffe
	s_wait_alu depctr_sa_sdst(0)
	s_delay_alu instid0(SALU_CYCLE_2) | instskip(SKIP_1) | instid1(SALU_CYCLE_2)
	s_cvt_u32_f32 s5, s5
	s_wait_alu depctr_sa_sdst(0)
	s_mul_i32 s6, s6, s5
	s_wait_alu depctr_sa_sdst(0)
	s_mul_hi_u32 s6, s5, s6
	s_wait_alu depctr_sa_sdst(0)
	s_add_co_i32 s5, s5, s6
	s_wait_alu depctr_sa_sdst(0)
	s_mul_hi_u32 s6, s16, s5
	s_wait_alu depctr_sa_sdst(0)
	s_mul_i32 s6, s6, s4
	s_wait_alu depctr_sa_sdst(0)
	s_sub_co_i32 s6, s16, s6
	s_wait_alu depctr_sa_sdst(0)
	s_sub_co_i32 s7, s6, s4
	s_cmp_ge_u32 s6, s4
	s_wait_alu depctr_sa_sdst(0)
	s_cselect_b32 s6, s7, s6
	s_wait_alu depctr_sa_sdst(0)
	s_sub_co_i32 s7, s6, s4
	s_cmp_ge_u32 s6, s4
	s_wait_alu depctr_sa_sdst(0)
	s_cselect_b32 s6, s7, s6
	.loc	1 14 23                         ; persistent_matmul.py:14:23 @[ persistent_matmul.py:65:90 ]
	s_sub_co_i32 s1, s97, s1
	.loc	1 13 37                         ; persistent_matmul.py:13:37 @[ persistent_matmul.py:65:90 ]
	s_wait_alu depctr_sa_sdst(0)
	s_xor_b32 s6, s6, s0
	.loc	1 14 44                         ; persistent_matmul.py:14:44 @[ persistent_matmul.py:65:90 ]
	s_xor_b32 s3, s1, s3
	s_abs_i32 s1, s1
	.loc	1 13 37                         ; persistent_matmul.py:13:37 @[ persistent_matmul.py:65:90 ]
	s_wait_alu depctr_sa_sdst(0)
	s_sub_co_i32 s0, s6, s0
	.loc	1 14 44                         ; persistent_matmul.py:14:44 @[ persistent_matmul.py:65:90 ]
	s_mul_hi_u32 s5, s1, s5
	.loc	1 13 27                         ; persistent_matmul.py:13:27 @[ persistent_matmul.py:65:90 ]
	s_wait_alu depctr_sa_sdst(0)
	s_add_co_i32 s2, s2, s0
	.loc	1 14 44                         ; persistent_matmul.py:14:44 @[ persistent_matmul.py:65:90 ]
	s_mul_i32 s6, s5, s4
	s_ashr_i32 s3, s3, 31
	s_wait_alu depctr_sa_sdst(0)
	s_sub_co_i32 s0, s1, s6
	s_add_co_i32 s1, s5, 1
	s_wait_alu depctr_sa_sdst(0)
	s_sub_co_i32 s6, s0, s4
	s_cmp_ge_u32 s0, s4
	s_cselect_b32 s1, s1, s5
	s_wait_alu depctr_sa_sdst(0)
	s_cselect_b32 s0, s6, s0
	s_add_co_i32 s5, s1, 1
	s_wait_alu depctr_sa_sdst(0)
	s_cmp_ge_u32 s0, s4
	s_cselect_b32 s0, s5, s1
.Ltmp44:
	.loc	1 66 26                         ; persistent_matmul.py:66:26
	s_lshl_b32 s16, s2, 6
.Ltmp45:
	.loc	1 14 44                         ; persistent_matmul.py:14:44 @[ persistent_matmul.py:65:90 ]
	s_wait_alu depctr_sa_sdst(0)
	s_xor_b32 s0, s0, s3
.Ltmp46:
	.loc	1 66 41                         ; persistent_matmul.py:66:41
	v_or_b32_e32 v33, s16, v49
.Ltmp47:
	.loc	1 14 44                         ; persistent_matmul.py:14:44 @[ persistent_matmul.py:65:90 ]
	s_wait_alu depctr_sa_sdst(0)
	s_sub_co_i32 s0, s0, s3
.Ltmp48:
	.loc	1 67 26                         ; persistent_matmul.py:67:26
	s_wait_alu depctr_sa_sdst(0)
	s_lshl_b32 s100, s0, 6
	.loc	1 68 37                         ; persistent_matmul.py:68:37
	v_mul_lo_u32 v34, v33, s18
	.loc	1 67 41                         ; persistent_matmul.py:67:41
	s_wait_alu depctr_sa_sdst(0)
	v_or_b32_e32 v35, s100, v50
	.loc	1 69 37                         ; persistent_matmul.py:69:37
	v_cmp_gt_i32_e64 s10, s22, v33
	s_delay_alu instid0(VALU_DEP_2) | instskip(SKIP_4) | instid1(VALU_DEP_2)
	.loc	1 68 68                         ; persistent_matmul.py:68:68
	v_mul_lo_u32 v32, v35, s19
	.loc	1 69 62                         ; persistent_matmul.py:69:62
	v_cmp_gt_i32_e32 vcc_lo, s23, v35
	.loc	1 68 25                         ; persistent_matmul.py:68:25
	v_ashrrev_i32_e32 v36, 31, v34
	v_add_co_u32 v117, s0, s20, v34
	s_wait_alu depctr_va_sdst(0)
	v_add_co_ci_u32_e64 v118, null, s21, v36, s0
	.loc	1 68 56 is_stmt 0               ; persistent_matmul.py:68:56
	v_ashrrev_i32_e32 v33, 31, v32
	.loc	1 69 43 is_stmt 1               ; persistent_matmul.py:69:43
	s_and_b32 s0, s10, vcc_lo
	.loc	1 74 25                         ; persistent_matmul.py:74:25
	s_wait_alu depctr_sa_sdst(0)
	s_and_saveexec_b32 s1, s0
	s_cbranch_execz .LBB0_123
; %bb.122:                              ;   in Loop: Header=BB0_69 Depth=1
	.loc	1 71 31                         ; persistent_matmul.py:71:31
	v_and_b32_e32 v34, 0x7fffffff, v24
	v_lshrrev_b32_e32 v36, 24, v24
	s_delay_alu instid0(VALU_DEP_2) | instskip(SKIP_1) | instid1(VALU_DEP_2)
	v_bfe_u32 v35, v34, 20, 1
	v_cmp_gt_u32_e64 s0, 0x43e80000, v34
	v_add3_u32 v35, v34, v35, 0x7ffff
	s_delay_alu instid0(VALU_DEP_1) | instskip(NEXT) | instid1(VALU_DEP_1)
	v_and_b32_e32 v35, 0xfff00000, v35
	v_max_u32_e32 v35, 0x3c800000, v35
	s_delay_alu instid0(VALU_DEP_1) | instskip(NEXT) | instid1(VALU_DEP_1)
	v_add_nc_u32_e32 v35, 0x4000000, v35
	v_lshrrev_b32_e32 v35, 20, v35
	s_wait_alu depctr_va_sdst(0)
	s_delay_alu instid0(VALU_DEP_1) | instskip(SKIP_2) | instid1(VALU_DEP_1)
	v_cndmask_b32_e64 v35, 0x7e, v35, s0
	v_cmp_lt_u32_e64 s0, 0x3c6fffff, v34
	s_wait_alu depctr_va_sdst(0)
	v_cndmask_b32_e64 v35, 7, v35, s0
	v_cmp_lt_u32_e64 s0, 0x3c500000, v34
	s_wait_alu depctr_va_sdst(0)
	s_delay_alu instid0(VALU_DEP_1) | instskip(SKIP_2) | instid1(VALU_DEP_1)
	v_cndmask_b32_e64 v35, 6, v35, s0
	v_cmp_lt_u32_e64 s0, 0x3c2fffff, v34
	s_wait_alu depctr_va_sdst(0)
	v_cndmask_b32_e64 v35, 5, v35, s0
	v_cmp_lt_u32_e64 s0, 0x3c100000, v34
	;; [unrolled: 7-line block ×4, first 2 shown]
	s_wait_alu depctr_va_sdst(0)
	s_delay_alu instid0(VALU_DEP_1) | instskip(SKIP_3) | instid1(VALU_DEP_2)
	v_cndmask_b32_e64 v34, 0, v35, s0
	v_cmp_o_f32_e64 s0, v24, v24
	v_and_b32_e32 v35, 0x80, v36
	s_wait_alu depctr_va_sdst(0)
	v_cndmask_b32_e64 v34, 0x7f, v34, s0
	s_delay_alu instid0(VALU_DEP_1)
	v_or_b32_e32 v36, v34, v35
	.loc	1 68 56                         ; persistent_matmul.py:68:56
	v_add_co_u32 v34, s0, v117, v32
	s_wait_alu depctr_va_sdst(0)
	v_add_co_ci_u32_e64 v35, null, v118, v33, s0
	.loc	1 74 25                         ; persistent_matmul.py:74:25
	global_store_b8 v[34:35], v36, off
.LBB0_123:                              ;   in Loop: Header=BB0_69 Depth=1
	.loc	1 0 25 is_stmt 0                ; persistent_matmul.py:0:25
	s_wait_alu depctr_sa_sdst(0)
	s_or_b32 exec_lo, exec_lo, s1
	.loc	1 67 41 is_stmt 1               ; persistent_matmul.py:67:41
	v_or_b32_e32 v35, s100, v52
	s_delay_alu instid0(VALU_DEP_1)
	.loc	1 68 68                         ; persistent_matmul.py:68:68
	v_mul_lo_u32 v34, v35, s19
	.loc	1 69 62                         ; persistent_matmul.py:69:62
	v_cmp_gt_i32_e64 s0, s23, v35
	.loc	1 69 43 is_stmt 0               ; persistent_matmul.py:69:43
	s_and_b32 s1, s10, s0
	.loc	1 68 56 is_stmt 1               ; persistent_matmul.py:68:56
	v_ashrrev_i32_e32 v35, 31, v34
	.loc	1 74 25                         ; persistent_matmul.py:74:25
	s_wait_alu depctr_sa_sdst(0)
	s_and_saveexec_b32 s2, s1
	s_cbranch_execz .LBB0_125
; %bb.124:                              ;   in Loop: Header=BB0_69 Depth=1
	.loc	1 71 31                         ; persistent_matmul.py:71:31
	v_and_b32_e32 v36, 0x7fffffff, v25
	v_lshrrev_b32_e32 v38, 24, v25
	s_delay_alu instid0(VALU_DEP_2) | instskip(SKIP_1) | instid1(VALU_DEP_3)
	v_bfe_u32 v37, v36, 20, 1
	v_cmp_gt_u32_e64 s1, 0x43e80000, v36
	v_and_b32_e32 v38, 0x80, v38
	s_delay_alu instid0(VALU_DEP_3) | instskip(NEXT) | instid1(VALU_DEP_1)
	v_add3_u32 v37, v36, v37, 0x7ffff
	v_and_b32_e32 v37, 0xfff00000, v37
	s_delay_alu instid0(VALU_DEP_1) | instskip(NEXT) | instid1(VALU_DEP_1)
	v_max_u32_e32 v37, 0x3c800000, v37
	v_add_nc_u32_e32 v37, 0x4000000, v37
	s_delay_alu instid0(VALU_DEP_1) | instskip(SKIP_1) | instid1(VALU_DEP_1)
	v_lshrrev_b32_e32 v37, 20, v37
	s_wait_alu depctr_va_sdst(0)
	v_cndmask_b32_e64 v37, 0x7e, v37, s1
	v_cmp_lt_u32_e64 s1, 0x3c6fffff, v36
	s_wait_alu depctr_va_sdst(0)
	s_delay_alu instid0(VALU_DEP_1) | instskip(SKIP_2) | instid1(VALU_DEP_1)
	v_cndmask_b32_e64 v37, 7, v37, s1
	v_cmp_lt_u32_e64 s1, 0x3c500000, v36
	s_wait_alu depctr_va_sdst(0)
	v_cndmask_b32_e64 v37, 6, v37, s1
	v_cmp_lt_u32_e64 s1, 0x3c2fffff, v36
	s_wait_alu depctr_va_sdst(0)
	s_delay_alu instid0(VALU_DEP_1) | instskip(SKIP_2) | instid1(VALU_DEP_1)
	v_cndmask_b32_e64 v37, 5, v37, s1
	v_cmp_lt_u32_e64 s1, 0x3c100000, v36
	;; [unrolled: 7-line block ×4, first 2 shown]
	s_wait_alu depctr_va_sdst(0)
	v_cndmask_b32_e64 v36, 0, v37, s1
	v_cmp_o_f32_e64 s1, v25, v25
	s_wait_alu depctr_va_sdst(0)
	s_delay_alu instid0(VALU_DEP_1) | instskip(SKIP_3) | instid1(VALU_DEP_3)
	v_cndmask_b32_e64 v39, 0x7f, v36, s1
	.loc	1 68 56                         ; persistent_matmul.py:68:56
	v_add_co_u32 v36, s1, v117, v34
	s_wait_alu depctr_va_sdst(0)
	v_add_co_ci_u32_e64 v37, null, v118, v35, s1
	.loc	1 71 31                         ; persistent_matmul.py:71:31
	v_or_b32_e32 v38, v39, v38
	.loc	1 74 25                         ; persistent_matmul.py:74:25
	global_store_b8 v[36:37], v38, off
.LBB0_125:                              ;   in Loop: Header=BB0_69 Depth=1
	.loc	1 0 25 is_stmt 0                ; persistent_matmul.py:0:25
	s_wait_alu depctr_sa_sdst(0)
	s_or_b32 exec_lo, exec_lo, s2
	.loc	1 67 41 is_stmt 1               ; persistent_matmul.py:67:41
	v_or_b32_e32 v37, s100, v53
	s_delay_alu instid0(VALU_DEP_1)
	.loc	1 68 68                         ; persistent_matmul.py:68:68
	v_mul_lo_u32 v36, v37, s19
	.loc	1 69 62                         ; persistent_matmul.py:69:62
	v_cmp_gt_i32_e64 s1, s23, v37
	.loc	1 69 43 is_stmt 0               ; persistent_matmul.py:69:43
	s_and_b32 s2, s10, s1
	.loc	1 68 56 is_stmt 1               ; persistent_matmul.py:68:56
	v_ashrrev_i32_e32 v37, 31, v36
	.loc	1 74 25                         ; persistent_matmul.py:74:25
	s_wait_alu depctr_sa_sdst(0)
	s_and_saveexec_b32 s3, s2
	s_cbranch_execz .LBB0_127
; %bb.126:                              ;   in Loop: Header=BB0_69 Depth=1
	.loc	1 71 31                         ; persistent_matmul.py:71:31
	v_and_b32_e32 v38, 0x7fffffff, v26
	v_lshrrev_b32_e32 v40, 24, v26
	s_delay_alu instid0(VALU_DEP_2) | instskip(SKIP_1) | instid1(VALU_DEP_3)
	v_bfe_u32 v39, v38, 20, 1
	v_cmp_gt_u32_e64 s2, 0x43e80000, v38
	v_and_b32_e32 v40, 0x80, v40
	s_delay_alu instid0(VALU_DEP_3) | instskip(NEXT) | instid1(VALU_DEP_1)
	v_add3_u32 v39, v38, v39, 0x7ffff
	v_and_b32_e32 v39, 0xfff00000, v39
	s_delay_alu instid0(VALU_DEP_1) | instskip(NEXT) | instid1(VALU_DEP_1)
	v_max_u32_e32 v39, 0x3c800000, v39
	v_add_nc_u32_e32 v39, 0x4000000, v39
	s_delay_alu instid0(VALU_DEP_1) | instskip(SKIP_1) | instid1(VALU_DEP_1)
	v_lshrrev_b32_e32 v39, 20, v39
	s_wait_alu depctr_va_sdst(0)
	v_cndmask_b32_e64 v39, 0x7e, v39, s2
	v_cmp_lt_u32_e64 s2, 0x3c6fffff, v38
	s_wait_alu depctr_va_sdst(0)
	s_delay_alu instid0(VALU_DEP_1) | instskip(SKIP_2) | instid1(VALU_DEP_1)
	v_cndmask_b32_e64 v39, 7, v39, s2
	v_cmp_lt_u32_e64 s2, 0x3c500000, v38
	s_wait_alu depctr_va_sdst(0)
	v_cndmask_b32_e64 v39, 6, v39, s2
	v_cmp_lt_u32_e64 s2, 0x3c2fffff, v38
	s_wait_alu depctr_va_sdst(0)
	s_delay_alu instid0(VALU_DEP_1) | instskip(SKIP_2) | instid1(VALU_DEP_1)
	v_cndmask_b32_e64 v39, 5, v39, s2
	v_cmp_lt_u32_e64 s2, 0x3c100000, v38
	s_wait_alu depctr_va_sdst(0)
	v_cndmask_b32_e64 v39, 4, v39, s2
	v_cmp_lt_u32_e64 s2, 0x3bdfffff, v38
	s_wait_alu depctr_va_sdst(0)
	s_delay_alu instid0(VALU_DEP_1) | instskip(SKIP_2) | instid1(VALU_DEP_1)
	v_cndmask_b32_e64 v39, 3, v39, s2
	v_cmp_lt_u32_e64 s2, 0x3ba00000, v38
	s_wait_alu depctr_va_sdst(0)
	v_cndmask_b32_e64 v39, 2, v39, s2
	v_cmp_lt_u32_e64 s2, 0x3b3fffff, v38
	s_wait_alu depctr_va_sdst(0)
	s_delay_alu instid0(VALU_DEP_1) | instskip(SKIP_2) | instid1(VALU_DEP_1)
	v_cndmask_b32_e64 v39, 1, v39, s2
	v_cmp_lt_u32_e64 s2, 0x3a800000, v38
	s_wait_alu depctr_va_sdst(0)
	v_cndmask_b32_e64 v38, 0, v39, s2
	v_cmp_o_f32_e64 s2, v26, v26
	s_wait_alu depctr_va_sdst(0)
	s_delay_alu instid0(VALU_DEP_1) | instskip(SKIP_3) | instid1(VALU_DEP_3)
	v_cndmask_b32_e64 v41, 0x7f, v38, s2
	.loc	1 68 56                         ; persistent_matmul.py:68:56
	v_add_co_u32 v38, s2, v117, v36
	s_wait_alu depctr_va_sdst(0)
	v_add_co_ci_u32_e64 v39, null, v118, v37, s2
	.loc	1 71 31                         ; persistent_matmul.py:71:31
	v_or_b32_e32 v40, v41, v40
	.loc	1 74 25                         ; persistent_matmul.py:74:25
	global_store_b8 v[38:39], v40, off
.LBB0_127:                              ;   in Loop: Header=BB0_69 Depth=1
	.loc	1 0 25 is_stmt 0                ; persistent_matmul.py:0:25
	s_wait_alu depctr_sa_sdst(0)
	s_or_b32 exec_lo, exec_lo, s3
	.loc	1 67 41 is_stmt 1               ; persistent_matmul.py:67:41
	v_or_b32_e32 v39, s100, v54
	s_delay_alu instid0(VALU_DEP_1)
	.loc	1 68 68                         ; persistent_matmul.py:68:68
	v_mul_lo_u32 v38, v39, s19
	.loc	1 69 62                         ; persistent_matmul.py:69:62
	v_cmp_gt_i32_e64 s2, s23, v39
	.loc	1 69 43 is_stmt 0               ; persistent_matmul.py:69:43
	s_and_b32 s3, s10, s2
	.loc	1 68 56 is_stmt 1               ; persistent_matmul.py:68:56
	v_ashrrev_i32_e32 v39, 31, v38
	.loc	1 74 25                         ; persistent_matmul.py:74:25
	s_wait_alu depctr_sa_sdst(0)
	s_and_saveexec_b32 s4, s3
	s_cbranch_execz .LBB0_129
; %bb.128:                              ;   in Loop: Header=BB0_69 Depth=1
	.loc	1 71 31                         ; persistent_matmul.py:71:31
	v_and_b32_e32 v40, 0x7fffffff, v27
	v_lshrrev_b32_e32 v42, 24, v27
	s_delay_alu instid0(VALU_DEP_2) | instskip(SKIP_1) | instid1(VALU_DEP_3)
	v_bfe_u32 v41, v40, 20, 1
	v_cmp_gt_u32_e64 s3, 0x43e80000, v40
	v_and_b32_e32 v42, 0x80, v42
	s_delay_alu instid0(VALU_DEP_3) | instskip(NEXT) | instid1(VALU_DEP_1)
	v_add3_u32 v41, v40, v41, 0x7ffff
	v_and_b32_e32 v41, 0xfff00000, v41
	s_delay_alu instid0(VALU_DEP_1) | instskip(NEXT) | instid1(VALU_DEP_1)
	v_max_u32_e32 v41, 0x3c800000, v41
	v_add_nc_u32_e32 v41, 0x4000000, v41
	s_delay_alu instid0(VALU_DEP_1) | instskip(SKIP_1) | instid1(VALU_DEP_1)
	v_lshrrev_b32_e32 v41, 20, v41
	s_wait_alu depctr_va_sdst(0)
	v_cndmask_b32_e64 v41, 0x7e, v41, s3
	v_cmp_lt_u32_e64 s3, 0x3c6fffff, v40
	s_wait_alu depctr_va_sdst(0)
	s_delay_alu instid0(VALU_DEP_1) | instskip(SKIP_2) | instid1(VALU_DEP_1)
	v_cndmask_b32_e64 v41, 7, v41, s3
	v_cmp_lt_u32_e64 s3, 0x3c500000, v40
	s_wait_alu depctr_va_sdst(0)
	v_cndmask_b32_e64 v41, 6, v41, s3
	v_cmp_lt_u32_e64 s3, 0x3c2fffff, v40
	s_wait_alu depctr_va_sdst(0)
	s_delay_alu instid0(VALU_DEP_1) | instskip(SKIP_2) | instid1(VALU_DEP_1)
	v_cndmask_b32_e64 v41, 5, v41, s3
	v_cmp_lt_u32_e64 s3, 0x3c100000, v40
	;; [unrolled: 7-line block ×4, first 2 shown]
	s_wait_alu depctr_va_sdst(0)
	v_cndmask_b32_e64 v40, 0, v41, s3
	v_cmp_o_f32_e64 s3, v27, v27
	s_wait_alu depctr_va_sdst(0)
	s_delay_alu instid0(VALU_DEP_1) | instskip(SKIP_3) | instid1(VALU_DEP_3)
	v_cndmask_b32_e64 v43, 0x7f, v40, s3
	.loc	1 68 56                         ; persistent_matmul.py:68:56
	v_add_co_u32 v40, s3, v117, v38
	s_wait_alu depctr_va_sdst(0)
	v_add_co_ci_u32_e64 v41, null, v118, v39, s3
	.loc	1 71 31                         ; persistent_matmul.py:71:31
	v_or_b32_e32 v42, v43, v42
	.loc	1 74 25                         ; persistent_matmul.py:74:25
	global_store_b8 v[40:41], v42, off
.LBB0_129:                              ;   in Loop: Header=BB0_69 Depth=1
	.loc	1 0 25 is_stmt 0                ; persistent_matmul.py:0:25
	s_wait_alu depctr_sa_sdst(0)
	s_or_b32 exec_lo, exec_lo, s4
	.loc	1 67 41 is_stmt 1               ; persistent_matmul.py:67:41
	v_or_b32_e32 v41, s100, v55
	s_delay_alu instid0(VALU_DEP_1)
	.loc	1 68 68                         ; persistent_matmul.py:68:68
	v_mul_lo_u32 v40, v41, s19
	.loc	1 69 62                         ; persistent_matmul.py:69:62
	v_cmp_gt_i32_e64 s3, s23, v41
	.loc	1 69 43 is_stmt 0               ; persistent_matmul.py:69:43
	s_and_b32 s4, s10, s3
	.loc	1 68 56 is_stmt 1               ; persistent_matmul.py:68:56
	v_ashrrev_i32_e32 v41, 31, v40
	.loc	1 74 25                         ; persistent_matmul.py:74:25
	s_wait_alu depctr_sa_sdst(0)
	s_and_saveexec_b32 s5, s4
	s_cbranch_execz .LBB0_131
; %bb.130:                              ;   in Loop: Header=BB0_69 Depth=1
	.loc	1 71 31                         ; persistent_matmul.py:71:31
	v_and_b32_e32 v42, 0x7fffffff, v28
	v_lshrrev_b32_e32 v44, 24, v28
	s_delay_alu instid0(VALU_DEP_2) | instskip(SKIP_1) | instid1(VALU_DEP_3)
	v_bfe_u32 v43, v42, 20, 1
	v_cmp_gt_u32_e64 s4, 0x43e80000, v42
	v_and_b32_e32 v44, 0x80, v44
	s_delay_alu instid0(VALU_DEP_3) | instskip(NEXT) | instid1(VALU_DEP_1)
	v_add3_u32 v43, v42, v43, 0x7ffff
	v_and_b32_e32 v43, 0xfff00000, v43
	s_delay_alu instid0(VALU_DEP_1) | instskip(NEXT) | instid1(VALU_DEP_1)
	v_max_u32_e32 v43, 0x3c800000, v43
	v_add_nc_u32_e32 v43, 0x4000000, v43
	s_delay_alu instid0(VALU_DEP_1) | instskip(SKIP_1) | instid1(VALU_DEP_1)
	v_lshrrev_b32_e32 v43, 20, v43
	s_wait_alu depctr_va_sdst(0)
	v_cndmask_b32_e64 v43, 0x7e, v43, s4
	v_cmp_lt_u32_e64 s4, 0x3c6fffff, v42
	s_wait_alu depctr_va_sdst(0)
	s_delay_alu instid0(VALU_DEP_1) | instskip(SKIP_2) | instid1(VALU_DEP_1)
	v_cndmask_b32_e64 v43, 7, v43, s4
	v_cmp_lt_u32_e64 s4, 0x3c500000, v42
	s_wait_alu depctr_va_sdst(0)
	v_cndmask_b32_e64 v43, 6, v43, s4
	v_cmp_lt_u32_e64 s4, 0x3c2fffff, v42
	s_wait_alu depctr_va_sdst(0)
	s_delay_alu instid0(VALU_DEP_1) | instskip(SKIP_2) | instid1(VALU_DEP_1)
	v_cndmask_b32_e64 v43, 5, v43, s4
	v_cmp_lt_u32_e64 s4, 0x3c100000, v42
	;; [unrolled: 7-line block ×4, first 2 shown]
	s_wait_alu depctr_va_sdst(0)
	v_cndmask_b32_e64 v42, 0, v43, s4
	v_cmp_o_f32_e64 s4, v28, v28
	s_wait_alu depctr_va_sdst(0)
	s_delay_alu instid0(VALU_DEP_1) | instskip(SKIP_3) | instid1(VALU_DEP_3)
	v_cndmask_b32_e64 v45, 0x7f, v42, s4
	.loc	1 68 56                         ; persistent_matmul.py:68:56
	v_add_co_u32 v42, s4, v117, v40
	s_wait_alu depctr_va_sdst(0)
	v_add_co_ci_u32_e64 v43, null, v118, v41, s4
	.loc	1 71 31                         ; persistent_matmul.py:71:31
	v_or_b32_e32 v44, v45, v44
	.loc	1 74 25                         ; persistent_matmul.py:74:25
	global_store_b8 v[42:43], v44, off
.LBB0_131:                              ;   in Loop: Header=BB0_69 Depth=1
	.loc	1 0 25 is_stmt 0                ; persistent_matmul.py:0:25
	s_wait_alu depctr_sa_sdst(0)
	s_or_b32 exec_lo, exec_lo, s5
	.loc	1 67 41 is_stmt 1               ; persistent_matmul.py:67:41
	v_or_b32_e32 v43, s100, v56
	s_delay_alu instid0(VALU_DEP_1)
	.loc	1 68 68                         ; persistent_matmul.py:68:68
	v_mul_lo_u32 v42, v43, s19
	.loc	1 69 62                         ; persistent_matmul.py:69:62
	v_cmp_gt_i32_e64 s4, s23, v43
	.loc	1 69 43 is_stmt 0               ; persistent_matmul.py:69:43
	s_and_b32 s5, s10, s4
	.loc	1 68 56 is_stmt 1               ; persistent_matmul.py:68:56
	v_ashrrev_i32_e32 v43, 31, v42
	.loc	1 74 25                         ; persistent_matmul.py:74:25
	s_wait_alu depctr_sa_sdst(0)
	s_and_saveexec_b32 s6, s5
	s_cbranch_execz .LBB0_133
; %bb.132:                              ;   in Loop: Header=BB0_69 Depth=1
	.loc	1 71 31                         ; persistent_matmul.py:71:31
	v_and_b32_e32 v44, 0x7fffffff, v29
	v_lshrrev_b32_e32 v46, 24, v29
	s_delay_alu instid0(VALU_DEP_2) | instskip(SKIP_1) | instid1(VALU_DEP_3)
	v_bfe_u32 v45, v44, 20, 1
	v_cmp_gt_u32_e64 s5, 0x43e80000, v44
	v_and_b32_e32 v46, 0x80, v46
	s_delay_alu instid0(VALU_DEP_3) | instskip(NEXT) | instid1(VALU_DEP_1)
	v_add3_u32 v45, v44, v45, 0x7ffff
	v_and_b32_e32 v45, 0xfff00000, v45
	s_delay_alu instid0(VALU_DEP_1) | instskip(NEXT) | instid1(VALU_DEP_1)
	v_max_u32_e32 v45, 0x3c800000, v45
	v_add_nc_u32_e32 v45, 0x4000000, v45
	s_delay_alu instid0(VALU_DEP_1) | instskip(SKIP_1) | instid1(VALU_DEP_1)
	v_lshrrev_b32_e32 v45, 20, v45
	s_wait_alu depctr_va_sdst(0)
	v_cndmask_b32_e64 v45, 0x7e, v45, s5
	v_cmp_lt_u32_e64 s5, 0x3c6fffff, v44
	s_wait_alu depctr_va_sdst(0)
	s_delay_alu instid0(VALU_DEP_1) | instskip(SKIP_2) | instid1(VALU_DEP_1)
	v_cndmask_b32_e64 v45, 7, v45, s5
	v_cmp_lt_u32_e64 s5, 0x3c500000, v44
	s_wait_alu depctr_va_sdst(0)
	v_cndmask_b32_e64 v45, 6, v45, s5
	v_cmp_lt_u32_e64 s5, 0x3c2fffff, v44
	s_wait_alu depctr_va_sdst(0)
	s_delay_alu instid0(VALU_DEP_1) | instskip(SKIP_2) | instid1(VALU_DEP_1)
	v_cndmask_b32_e64 v45, 5, v45, s5
	v_cmp_lt_u32_e64 s5, 0x3c100000, v44
	;; [unrolled: 7-line block ×4, first 2 shown]
	s_wait_alu depctr_va_sdst(0)
	v_cndmask_b32_e64 v44, 0, v45, s5
	v_cmp_o_f32_e64 s5, v29, v29
	s_wait_alu depctr_va_sdst(0)
	s_delay_alu instid0(VALU_DEP_1) | instskip(SKIP_3) | instid1(VALU_DEP_3)
	v_cndmask_b32_e64 v47, 0x7f, v44, s5
	.loc	1 68 56                         ; persistent_matmul.py:68:56
	v_add_co_u32 v44, s5, v117, v42
	s_wait_alu depctr_va_sdst(0)
	v_add_co_ci_u32_e64 v45, null, v118, v43, s5
	.loc	1 71 31                         ; persistent_matmul.py:71:31
	v_or_b32_e32 v46, v47, v46
	.loc	1 74 25                         ; persistent_matmul.py:74:25
	global_store_b8 v[44:45], v46, off
.LBB0_133:                              ;   in Loop: Header=BB0_69 Depth=1
	.loc	1 0 25 is_stmt 0                ; persistent_matmul.py:0:25
	s_wait_alu depctr_sa_sdst(0)
	s_or_b32 exec_lo, exec_lo, s6
	.loc	1 67 41 is_stmt 1               ; persistent_matmul.py:67:41
	v_or_b32_e32 v45, s100, v57
	s_delay_alu instid0(VALU_DEP_1)
	.loc	1 68 68                         ; persistent_matmul.py:68:68
	v_mul_lo_u32 v44, v45, s19
	.loc	1 69 62                         ; persistent_matmul.py:69:62
	v_cmp_gt_i32_e64 s5, s23, v45
	.loc	1 69 43 is_stmt 0               ; persistent_matmul.py:69:43
	s_and_b32 s6, s10, s5
	.loc	1 68 56 is_stmt 1               ; persistent_matmul.py:68:56
	v_ashrrev_i32_e32 v45, 31, v44
	.loc	1 74 25                         ; persistent_matmul.py:74:25
	s_wait_alu depctr_sa_sdst(0)
	s_and_saveexec_b32 s7, s6
	s_cbranch_execz .LBB0_135
; %bb.134:                              ;   in Loop: Header=BB0_69 Depth=1
	.loc	1 71 31                         ; persistent_matmul.py:71:31
	v_and_b32_e32 v46, 0x7fffffff, v30
	v_lshrrev_b32_e32 v110, 24, v30
	s_delay_alu instid0(VALU_DEP_2) | instskip(SKIP_1) | instid1(VALU_DEP_3)
	v_bfe_u32 v47, v46, 20, 1
	v_cmp_gt_u32_e64 s6, 0x43e80000, v46
	v_and_b32_e32 v110, 0x80, v110
	s_delay_alu instid0(VALU_DEP_3) | instskip(NEXT) | instid1(VALU_DEP_1)
	v_add3_u32 v47, v46, v47, 0x7ffff
	v_and_b32_e32 v47, 0xfff00000, v47
	s_delay_alu instid0(VALU_DEP_1) | instskip(NEXT) | instid1(VALU_DEP_1)
	v_max_u32_e32 v47, 0x3c800000, v47
	v_add_nc_u32_e32 v47, 0x4000000, v47
	s_delay_alu instid0(VALU_DEP_1) | instskip(SKIP_1) | instid1(VALU_DEP_1)
	v_lshrrev_b32_e32 v47, 20, v47
	s_wait_alu depctr_va_sdst(0)
	v_cndmask_b32_e64 v47, 0x7e, v47, s6
	v_cmp_lt_u32_e64 s6, 0x3c6fffff, v46
	s_wait_alu depctr_va_sdst(0)
	s_delay_alu instid0(VALU_DEP_1) | instskip(SKIP_2) | instid1(VALU_DEP_1)
	v_cndmask_b32_e64 v47, 7, v47, s6
	v_cmp_lt_u32_e64 s6, 0x3c500000, v46
	s_wait_alu depctr_va_sdst(0)
	v_cndmask_b32_e64 v47, 6, v47, s6
	v_cmp_lt_u32_e64 s6, 0x3c2fffff, v46
	s_wait_alu depctr_va_sdst(0)
	s_delay_alu instid0(VALU_DEP_1) | instskip(SKIP_2) | instid1(VALU_DEP_1)
	v_cndmask_b32_e64 v47, 5, v47, s6
	v_cmp_lt_u32_e64 s6, 0x3c100000, v46
	;; [unrolled: 7-line block ×4, first 2 shown]
	s_wait_alu depctr_va_sdst(0)
	v_cndmask_b32_e64 v46, 0, v47, s6
	v_cmp_o_f32_e64 s6, v30, v30
	s_wait_alu depctr_va_sdst(0)
	s_delay_alu instid0(VALU_DEP_1) | instskip(SKIP_3) | instid1(VALU_DEP_3)
	v_cndmask_b32_e64 v111, 0x7f, v46, s6
	.loc	1 68 56                         ; persistent_matmul.py:68:56
	v_add_co_u32 v46, s6, v117, v44
	s_wait_alu depctr_va_sdst(0)
	v_add_co_ci_u32_e64 v47, null, v118, v45, s6
	.loc	1 71 31                         ; persistent_matmul.py:71:31
	v_or_b32_e32 v110, v111, v110
	.loc	1 74 25                         ; persistent_matmul.py:74:25
	global_store_b8 v[46:47], v110, off
.LBB0_135:                              ;   in Loop: Header=BB0_69 Depth=1
	.loc	1 0 25 is_stmt 0                ; persistent_matmul.py:0:25
	s_wait_alu depctr_sa_sdst(0)
	s_or_b32 exec_lo, exec_lo, s7
	.loc	1 67 41 is_stmt 1               ; persistent_matmul.py:67:41
	v_or_b32_e32 v47, s100, v58
	s_delay_alu instid0(VALU_DEP_1)
	.loc	1 68 68                         ; persistent_matmul.py:68:68
	v_mul_lo_u32 v46, v47, s19
	.loc	1 69 62                         ; persistent_matmul.py:69:62
	v_cmp_gt_i32_e64 s6, s23, v47
	.loc	1 69 43 is_stmt 0               ; persistent_matmul.py:69:43
	s_and_b32 s7, s10, s6
	.loc	1 68 56 is_stmt 1               ; persistent_matmul.py:68:56
	v_ashrrev_i32_e32 v47, 31, v46
	.loc	1 74 25                         ; persistent_matmul.py:74:25
	s_wait_alu depctr_sa_sdst(0)
	s_and_saveexec_b32 s8, s7
	s_cbranch_execz .LBB0_137
; %bb.136:                              ;   in Loop: Header=BB0_69 Depth=1
	.loc	1 71 31                         ; persistent_matmul.py:71:31
	v_and_b32_e32 v110, 0x7fffffff, v31
	v_lshrrev_b32_e32 v112, 24, v31
	s_delay_alu instid0(VALU_DEP_2) | instskip(SKIP_1) | instid1(VALU_DEP_3)
	v_bfe_u32 v111, v110, 20, 1
	v_cmp_gt_u32_e64 s7, 0x43e80000, v110
	v_and_b32_e32 v112, 0x80, v112
	s_delay_alu instid0(VALU_DEP_3) | instskip(NEXT) | instid1(VALU_DEP_1)
	v_add3_u32 v111, v110, v111, 0x7ffff
	v_and_b32_e32 v111, 0xfff00000, v111
	s_delay_alu instid0(VALU_DEP_1) | instskip(NEXT) | instid1(VALU_DEP_1)
	v_max_u32_e32 v111, 0x3c800000, v111
	v_add_nc_u32_e32 v111, 0x4000000, v111
	s_delay_alu instid0(VALU_DEP_1) | instskip(SKIP_1) | instid1(VALU_DEP_1)
	v_lshrrev_b32_e32 v111, 20, v111
	s_wait_alu depctr_va_sdst(0)
	v_cndmask_b32_e64 v111, 0x7e, v111, s7
	v_cmp_lt_u32_e64 s7, 0x3c6fffff, v110
	s_wait_alu depctr_va_sdst(0)
	s_delay_alu instid0(VALU_DEP_1) | instskip(SKIP_2) | instid1(VALU_DEP_1)
	v_cndmask_b32_e64 v111, 7, v111, s7
	v_cmp_lt_u32_e64 s7, 0x3c500000, v110
	s_wait_alu depctr_va_sdst(0)
	v_cndmask_b32_e64 v111, 6, v111, s7
	v_cmp_lt_u32_e64 s7, 0x3c2fffff, v110
	s_wait_alu depctr_va_sdst(0)
	s_delay_alu instid0(VALU_DEP_1) | instskip(SKIP_2) | instid1(VALU_DEP_1)
	v_cndmask_b32_e64 v111, 5, v111, s7
	v_cmp_lt_u32_e64 s7, 0x3c100000, v110
	;; [unrolled: 7-line block ×4, first 2 shown]
	s_wait_alu depctr_va_sdst(0)
	v_cndmask_b32_e64 v110, 0, v111, s7
	v_cmp_o_f32_e64 s7, v31, v31
	s_wait_alu depctr_va_sdst(0)
	s_delay_alu instid0(VALU_DEP_1) | instskip(SKIP_3) | instid1(VALU_DEP_3)
	v_cndmask_b32_e64 v113, 0x7f, v110, s7
	.loc	1 68 56                         ; persistent_matmul.py:68:56
	v_add_co_u32 v110, s7, v117, v46
	s_wait_alu depctr_va_sdst(0)
	v_add_co_ci_u32_e64 v111, null, v118, v47, s7
	.loc	1 71 31                         ; persistent_matmul.py:71:31
	v_or_b32_e32 v112, v113, v112
	.loc	1 74 25                         ; persistent_matmul.py:74:25
	global_store_b8 v[110:111], v112, off
.LBB0_137:                              ;   in Loop: Header=BB0_69 Depth=1
	.loc	1 0 25 is_stmt 0                ; persistent_matmul.py:0:25
	s_wait_alu depctr_sa_sdst(0)
	s_or_b32 exec_lo, exec_lo, s8
	.loc	1 67 41 is_stmt 1               ; persistent_matmul.py:67:41
	v_or_b32_e32 v111, s100, v59
	s_delay_alu instid0(VALU_DEP_1)
	.loc	1 68 68                         ; persistent_matmul.py:68:68
	v_mul_lo_u32 v110, v111, s19
	.loc	1 69 62                         ; persistent_matmul.py:69:62
	v_cmp_gt_i32_e64 s7, s23, v111
	.loc	1 69 43 is_stmt 0               ; persistent_matmul.py:69:43
	s_and_b32 s8, s10, s7
	.loc	1 68 56 is_stmt 1               ; persistent_matmul.py:68:56
	v_ashrrev_i32_e32 v111, 31, v110
	.loc	1 74 25                         ; persistent_matmul.py:74:25
	s_wait_alu depctr_sa_sdst(0)
	s_and_saveexec_b32 s9, s8
	s_cbranch_execz .LBB0_139
; %bb.138:                              ;   in Loop: Header=BB0_69 Depth=1
	.loc	1 71 31                         ; persistent_matmul.py:71:31
	v_and_b32_e32 v112, 0x7fffffff, v16
	v_lshrrev_b32_e32 v114, 24, v16
	s_delay_alu instid0(VALU_DEP_2) | instskip(SKIP_1) | instid1(VALU_DEP_3)
	v_bfe_u32 v113, v112, 20, 1
	v_cmp_gt_u32_e64 s8, 0x43e80000, v112
	v_and_b32_e32 v114, 0x80, v114
	s_delay_alu instid0(VALU_DEP_3) | instskip(NEXT) | instid1(VALU_DEP_1)
	v_add3_u32 v113, v112, v113, 0x7ffff
	v_and_b32_e32 v113, 0xfff00000, v113
	s_delay_alu instid0(VALU_DEP_1) | instskip(NEXT) | instid1(VALU_DEP_1)
	v_max_u32_e32 v113, 0x3c800000, v113
	v_add_nc_u32_e32 v113, 0x4000000, v113
	s_delay_alu instid0(VALU_DEP_1) | instskip(SKIP_1) | instid1(VALU_DEP_1)
	v_lshrrev_b32_e32 v113, 20, v113
	s_wait_alu depctr_va_sdst(0)
	v_cndmask_b32_e64 v113, 0x7e, v113, s8
	v_cmp_lt_u32_e64 s8, 0x3c6fffff, v112
	s_wait_alu depctr_va_sdst(0)
	s_delay_alu instid0(VALU_DEP_1) | instskip(SKIP_2) | instid1(VALU_DEP_1)
	v_cndmask_b32_e64 v113, 7, v113, s8
	v_cmp_lt_u32_e64 s8, 0x3c500000, v112
	s_wait_alu depctr_va_sdst(0)
	v_cndmask_b32_e64 v113, 6, v113, s8
	v_cmp_lt_u32_e64 s8, 0x3c2fffff, v112
	s_wait_alu depctr_va_sdst(0)
	s_delay_alu instid0(VALU_DEP_1) | instskip(SKIP_2) | instid1(VALU_DEP_1)
	v_cndmask_b32_e64 v113, 5, v113, s8
	v_cmp_lt_u32_e64 s8, 0x3c100000, v112
	;; [unrolled: 7-line block ×4, first 2 shown]
	s_wait_alu depctr_va_sdst(0)
	v_cndmask_b32_e64 v112, 0, v113, s8
	v_cmp_o_f32_e64 s8, v16, v16
	s_wait_alu depctr_va_sdst(0)
	s_delay_alu instid0(VALU_DEP_1) | instskip(SKIP_3) | instid1(VALU_DEP_3)
	v_cndmask_b32_e64 v115, 0x7f, v112, s8
	.loc	1 68 56                         ; persistent_matmul.py:68:56
	v_add_co_u32 v112, s8, v117, v110
	s_wait_alu depctr_va_sdst(0)
	v_add_co_ci_u32_e64 v113, null, v118, v111, s8
	.loc	1 71 31                         ; persistent_matmul.py:71:31
	v_or_b32_e32 v114, v115, v114
	.loc	1 74 25                         ; persistent_matmul.py:74:25
	global_store_b8 v[112:113], v114, off
.LBB0_139:                              ;   in Loop: Header=BB0_69 Depth=1
	.loc	1 0 25 is_stmt 0                ; persistent_matmul.py:0:25
	s_wait_alu depctr_sa_sdst(0)
	s_or_b32 exec_lo, exec_lo, s9
	.loc	1 67 41 is_stmt 1               ; persistent_matmul.py:67:41
	v_or_b32_e32 v113, s100, v60
	s_delay_alu instid0(VALU_DEP_1)
	.loc	1 68 68                         ; persistent_matmul.py:68:68
	v_mul_lo_u32 v112, v113, s19
	.loc	1 69 62                         ; persistent_matmul.py:69:62
	v_cmp_gt_i32_e64 s8, s23, v113
	.loc	1 69 43 is_stmt 0               ; persistent_matmul.py:69:43
	s_and_b32 s9, s10, s8
	.loc	1 68 56 is_stmt 1               ; persistent_matmul.py:68:56
	v_ashrrev_i32_e32 v113, 31, v112
	.loc	1 74 25                         ; persistent_matmul.py:74:25
	s_wait_alu depctr_sa_sdst(0)
	s_and_saveexec_b32 s11, s9
	s_cbranch_execz .LBB0_141
; %bb.140:                              ;   in Loop: Header=BB0_69 Depth=1
	.loc	1 71 31                         ; persistent_matmul.py:71:31
	v_and_b32_e32 v114, 0x7fffffff, v17
	v_lshrrev_b32_e32 v116, 24, v17
	s_delay_alu instid0(VALU_DEP_2) | instskip(SKIP_1) | instid1(VALU_DEP_3)
	v_bfe_u32 v115, v114, 20, 1
	v_cmp_gt_u32_e64 s9, 0x43e80000, v114
	v_and_b32_e32 v116, 0x80, v116
	s_delay_alu instid0(VALU_DEP_3) | instskip(NEXT) | instid1(VALU_DEP_1)
	v_add3_u32 v115, v114, v115, 0x7ffff
	v_and_b32_e32 v115, 0xfff00000, v115
	s_delay_alu instid0(VALU_DEP_1) | instskip(NEXT) | instid1(VALU_DEP_1)
	v_max_u32_e32 v115, 0x3c800000, v115
	v_add_nc_u32_e32 v115, 0x4000000, v115
	s_delay_alu instid0(VALU_DEP_1) | instskip(SKIP_1) | instid1(VALU_DEP_1)
	v_lshrrev_b32_e32 v115, 20, v115
	s_wait_alu depctr_va_sdst(0)
	v_cndmask_b32_e64 v115, 0x7e, v115, s9
	v_cmp_lt_u32_e64 s9, 0x3c6fffff, v114
	s_wait_alu depctr_va_sdst(0)
	s_delay_alu instid0(VALU_DEP_1) | instskip(SKIP_2) | instid1(VALU_DEP_1)
	v_cndmask_b32_e64 v115, 7, v115, s9
	v_cmp_lt_u32_e64 s9, 0x3c500000, v114
	s_wait_alu depctr_va_sdst(0)
	v_cndmask_b32_e64 v115, 6, v115, s9
	v_cmp_lt_u32_e64 s9, 0x3c2fffff, v114
	s_wait_alu depctr_va_sdst(0)
	s_delay_alu instid0(VALU_DEP_1) | instskip(SKIP_2) | instid1(VALU_DEP_1)
	v_cndmask_b32_e64 v115, 5, v115, s9
	v_cmp_lt_u32_e64 s9, 0x3c100000, v114
	;; [unrolled: 7-line block ×4, first 2 shown]
	s_wait_alu depctr_va_sdst(0)
	v_cndmask_b32_e64 v114, 0, v115, s9
	v_cmp_o_f32_e64 s9, v17, v17
	s_wait_alu depctr_va_sdst(0)
	s_delay_alu instid0(VALU_DEP_1) | instskip(SKIP_3) | instid1(VALU_DEP_3)
	v_cndmask_b32_e64 v119, 0x7f, v114, s9
	.loc	1 68 56                         ; persistent_matmul.py:68:56
	v_add_co_u32 v114, s9, v117, v112
	s_wait_alu depctr_va_sdst(0)
	v_add_co_ci_u32_e64 v115, null, v118, v113, s9
	.loc	1 71 31                         ; persistent_matmul.py:71:31
	v_or_b32_e32 v116, v119, v116
	.loc	1 74 25                         ; persistent_matmul.py:74:25
	global_store_b8 v[114:115], v116, off
.LBB0_141:                              ;   in Loop: Header=BB0_69 Depth=1
	.loc	1 0 25 is_stmt 0                ; persistent_matmul.py:0:25
	s_wait_alu depctr_sa_sdst(0)
	s_or_b32 exec_lo, exec_lo, s11
	.loc	1 67 41 is_stmt 1               ; persistent_matmul.py:67:41
	v_or_b32_e32 v115, s100, v61
	s_delay_alu instid0(VALU_DEP_1)
	.loc	1 68 68                         ; persistent_matmul.py:68:68
	v_mul_lo_u32 v114, v115, s19
	.loc	1 69 62                         ; persistent_matmul.py:69:62
	v_cmp_gt_i32_e64 s9, s23, v115
	.loc	1 69 43 is_stmt 0               ; persistent_matmul.py:69:43
	s_and_b32 s11, s10, s9
	.loc	1 68 56 is_stmt 1               ; persistent_matmul.py:68:56
	v_ashrrev_i32_e32 v115, 31, v114
	.loc	1 74 25                         ; persistent_matmul.py:74:25
	s_wait_alu depctr_sa_sdst(0)
	s_and_saveexec_b32 s12, s11
	s_cbranch_execz .LBB0_143
; %bb.142:                              ;   in Loop: Header=BB0_69 Depth=1
	.loc	1 71 31                         ; persistent_matmul.py:71:31
	v_and_b32_e32 v116, 0x7fffffff, v18
	v_lshrrev_b32_e32 v120, 24, v18
	s_delay_alu instid0(VALU_DEP_2) | instskip(SKIP_1) | instid1(VALU_DEP_3)
	v_bfe_u32 v119, v116, 20, 1
	v_cmp_gt_u32_e64 s11, 0x43e80000, v116
	v_and_b32_e32 v121, 0x80, v120
	s_delay_alu instid0(VALU_DEP_3) | instskip(NEXT) | instid1(VALU_DEP_1)
	v_add3_u32 v119, v116, v119, 0x7ffff
	v_and_b32_e32 v119, 0xfff00000, v119
	s_delay_alu instid0(VALU_DEP_1) | instskip(NEXT) | instid1(VALU_DEP_1)
	v_max_u32_e32 v119, 0x3c800000, v119
	v_add_nc_u32_e32 v119, 0x4000000, v119
	s_delay_alu instid0(VALU_DEP_1) | instskip(SKIP_1) | instid1(VALU_DEP_1)
	v_lshrrev_b32_e32 v119, 20, v119
	s_wait_alu depctr_va_sdst(0)
	v_cndmask_b32_e64 v119, 0x7e, v119, s11
	v_cmp_lt_u32_e64 s11, 0x3c6fffff, v116
	s_wait_alu depctr_va_sdst(0)
	s_delay_alu instid0(VALU_DEP_1) | instskip(SKIP_2) | instid1(VALU_DEP_1)
	v_cndmask_b32_e64 v119, 7, v119, s11
	v_cmp_lt_u32_e64 s11, 0x3c500000, v116
	s_wait_alu depctr_va_sdst(0)
	v_cndmask_b32_e64 v119, 6, v119, s11
	v_cmp_lt_u32_e64 s11, 0x3c2fffff, v116
	s_wait_alu depctr_va_sdst(0)
	s_delay_alu instid0(VALU_DEP_1) | instskip(SKIP_2) | instid1(VALU_DEP_1)
	v_cndmask_b32_e64 v119, 5, v119, s11
	v_cmp_lt_u32_e64 s11, 0x3c100000, v116
	;; [unrolled: 7-line block ×4, first 2 shown]
	s_wait_alu depctr_va_sdst(0)
	v_cndmask_b32_e64 v116, 0, v119, s11
	v_cmp_o_f32_e64 s11, v18, v18
	s_wait_alu depctr_va_sdst(0)
	s_delay_alu instid0(VALU_DEP_1) | instskip(SKIP_3) | instid1(VALU_DEP_3)
	v_cndmask_b32_e64 v116, 0x7f, v116, s11
	.loc	1 68 56                         ; persistent_matmul.py:68:56
	v_add_co_u32 v119, s11, v117, v114
	s_wait_alu depctr_va_sdst(0)
	v_add_co_ci_u32_e64 v120, null, v118, v115, s11
	.loc	1 71 31                         ; persistent_matmul.py:71:31
	v_or_b32_e32 v116, v116, v121
	.loc	1 74 25                         ; persistent_matmul.py:74:25
	global_store_b8 v[119:120], v116, off
.LBB0_143:                              ;   in Loop: Header=BB0_69 Depth=1
	.loc	1 0 25 is_stmt 0                ; persistent_matmul.py:0:25
	s_wait_alu depctr_sa_sdst(0)
	s_or_b32 exec_lo, exec_lo, s12
	.loc	1 67 41 is_stmt 1               ; persistent_matmul.py:67:41
	v_or_b32_e32 v119, s100, v62
	s_delay_alu instid0(VALU_DEP_1)
	.loc	1 68 68                         ; persistent_matmul.py:68:68
	v_mul_lo_u32 v116, v119, s19
	.loc	1 69 62                         ; persistent_matmul.py:69:62
	v_cmp_gt_i32_e64 s11, s23, v119
	.loc	1 69 43 is_stmt 0               ; persistent_matmul.py:69:43
	s_and_b32 s12, s10, s11
	.loc	1 68 56 is_stmt 1               ; persistent_matmul.py:68:56
	v_ashrrev_i32_e32 v119, 31, v116
	.loc	1 74 25                         ; persistent_matmul.py:74:25
	s_wait_alu depctr_sa_sdst(0)
	s_and_saveexec_b32 s13, s12
	s_cbranch_execz .LBB0_145
; %bb.144:                              ;   in Loop: Header=BB0_69 Depth=1
	.loc	1 71 31                         ; persistent_matmul.py:71:31
	v_and_b32_e32 v120, 0x7fffffff, v19
	v_lshrrev_b32_e32 v122, 24, v19
	s_delay_alu instid0(VALU_DEP_2) | instskip(SKIP_1) | instid1(VALU_DEP_3)
	v_bfe_u32 v121, v120, 20, 1
	v_cmp_gt_u32_e64 s12, 0x43e80000, v120
	v_and_b32_e32 v122, 0x80, v122
	s_delay_alu instid0(VALU_DEP_3) | instskip(NEXT) | instid1(VALU_DEP_1)
	v_add3_u32 v121, v120, v121, 0x7ffff
	v_and_b32_e32 v121, 0xfff00000, v121
	s_delay_alu instid0(VALU_DEP_1) | instskip(NEXT) | instid1(VALU_DEP_1)
	v_max_u32_e32 v121, 0x3c800000, v121
	v_add_nc_u32_e32 v121, 0x4000000, v121
	s_delay_alu instid0(VALU_DEP_1) | instskip(SKIP_1) | instid1(VALU_DEP_1)
	v_lshrrev_b32_e32 v121, 20, v121
	s_wait_alu depctr_va_sdst(0)
	v_cndmask_b32_e64 v121, 0x7e, v121, s12
	v_cmp_lt_u32_e64 s12, 0x3c6fffff, v120
	s_wait_alu depctr_va_sdst(0)
	s_delay_alu instid0(VALU_DEP_1) | instskip(SKIP_2) | instid1(VALU_DEP_1)
	v_cndmask_b32_e64 v121, 7, v121, s12
	v_cmp_lt_u32_e64 s12, 0x3c500000, v120
	s_wait_alu depctr_va_sdst(0)
	v_cndmask_b32_e64 v121, 6, v121, s12
	v_cmp_lt_u32_e64 s12, 0x3c2fffff, v120
	s_wait_alu depctr_va_sdst(0)
	s_delay_alu instid0(VALU_DEP_1) | instskip(SKIP_2) | instid1(VALU_DEP_1)
	v_cndmask_b32_e64 v121, 5, v121, s12
	v_cmp_lt_u32_e64 s12, 0x3c100000, v120
	;; [unrolled: 7-line block ×4, first 2 shown]
	s_wait_alu depctr_va_sdst(0)
	v_cndmask_b32_e64 v120, 0, v121, s12
	v_cmp_o_f32_e64 s12, v19, v19
	s_wait_alu depctr_va_sdst(0)
	s_delay_alu instid0(VALU_DEP_1) | instskip(SKIP_3) | instid1(VALU_DEP_3)
	v_cndmask_b32_e64 v123, 0x7f, v120, s12
	.loc	1 68 56                         ; persistent_matmul.py:68:56
	v_add_co_u32 v120, s12, v117, v116
	s_wait_alu depctr_va_sdst(0)
	v_add_co_ci_u32_e64 v121, null, v118, v119, s12
	.loc	1 71 31                         ; persistent_matmul.py:71:31
	v_or_b32_e32 v122, v123, v122
	.loc	1 74 25                         ; persistent_matmul.py:74:25
	global_store_b8 v[120:121], v122, off
.LBB0_145:                              ;   in Loop: Header=BB0_69 Depth=1
	.loc	1 0 25 is_stmt 0                ; persistent_matmul.py:0:25
	s_wait_alu depctr_sa_sdst(0)
	s_or_b32 exec_lo, exec_lo, s13
	.loc	1 67 41 is_stmt 1               ; persistent_matmul.py:67:41
	v_or_b32_e32 v121, s100, v63
	s_delay_alu instid0(VALU_DEP_1)
	.loc	1 68 68                         ; persistent_matmul.py:68:68
	v_mul_lo_u32 v120, v121, s19
	.loc	1 69 62                         ; persistent_matmul.py:69:62
	v_cmp_gt_i32_e64 s12, s23, v121
	.loc	1 69 43 is_stmt 0               ; persistent_matmul.py:69:43
	s_and_b32 s13, s10, s12
	.loc	1 68 56 is_stmt 1               ; persistent_matmul.py:68:56
	v_ashrrev_i32_e32 v121, 31, v120
	.loc	1 74 25                         ; persistent_matmul.py:74:25
	s_wait_alu depctr_sa_sdst(0)
	s_and_saveexec_b32 s14, s13
	s_cbranch_execz .LBB0_147
; %bb.146:                              ;   in Loop: Header=BB0_69 Depth=1
	.loc	1 71 31                         ; persistent_matmul.py:71:31
	v_and_b32_e32 v122, 0x7fffffff, v20
	v_lshrrev_b32_e32 v124, 24, v20
	s_delay_alu instid0(VALU_DEP_2) | instskip(SKIP_1) | instid1(VALU_DEP_3)
	v_bfe_u32 v123, v122, 20, 1
	v_cmp_gt_u32_e64 s13, 0x43e80000, v122
	v_and_b32_e32 v124, 0x80, v124
	s_delay_alu instid0(VALU_DEP_3) | instskip(NEXT) | instid1(VALU_DEP_1)
	v_add3_u32 v123, v122, v123, 0x7ffff
	v_and_b32_e32 v123, 0xfff00000, v123
	s_delay_alu instid0(VALU_DEP_1) | instskip(NEXT) | instid1(VALU_DEP_1)
	v_max_u32_e32 v123, 0x3c800000, v123
	v_add_nc_u32_e32 v123, 0x4000000, v123
	s_delay_alu instid0(VALU_DEP_1) | instskip(SKIP_1) | instid1(VALU_DEP_1)
	v_lshrrev_b32_e32 v123, 20, v123
	s_wait_alu depctr_va_sdst(0)
	v_cndmask_b32_e64 v123, 0x7e, v123, s13
	v_cmp_lt_u32_e64 s13, 0x3c6fffff, v122
	s_wait_alu depctr_va_sdst(0)
	s_delay_alu instid0(VALU_DEP_1) | instskip(SKIP_2) | instid1(VALU_DEP_1)
	v_cndmask_b32_e64 v123, 7, v123, s13
	v_cmp_lt_u32_e64 s13, 0x3c500000, v122
	s_wait_alu depctr_va_sdst(0)
	v_cndmask_b32_e64 v123, 6, v123, s13
	v_cmp_lt_u32_e64 s13, 0x3c2fffff, v122
	s_wait_alu depctr_va_sdst(0)
	s_delay_alu instid0(VALU_DEP_1) | instskip(SKIP_2) | instid1(VALU_DEP_1)
	v_cndmask_b32_e64 v123, 5, v123, s13
	v_cmp_lt_u32_e64 s13, 0x3c100000, v122
	;; [unrolled: 7-line block ×4, first 2 shown]
	s_wait_alu depctr_va_sdst(0)
	v_cndmask_b32_e64 v122, 0, v123, s13
	v_cmp_o_f32_e64 s13, v20, v20
	s_wait_alu depctr_va_sdst(0)
	s_delay_alu instid0(VALU_DEP_1) | instskip(SKIP_3) | instid1(VALU_DEP_3)
	v_cndmask_b32_e64 v125, 0x7f, v122, s13
	.loc	1 68 56                         ; persistent_matmul.py:68:56
	v_add_co_u32 v122, s13, v117, v120
	s_wait_alu depctr_va_sdst(0)
	v_add_co_ci_u32_e64 v123, null, v118, v121, s13
	.loc	1 71 31                         ; persistent_matmul.py:71:31
	v_or_b32_e32 v124, v125, v124
	.loc	1 74 25                         ; persistent_matmul.py:74:25
	global_store_b8 v[122:123], v124, off
.LBB0_147:                              ;   in Loop: Header=BB0_69 Depth=1
	.loc	1 0 25 is_stmt 0                ; persistent_matmul.py:0:25
	s_wait_alu depctr_sa_sdst(0)
	s_or_b32 exec_lo, exec_lo, s14
	.loc	1 67 41 is_stmt 1               ; persistent_matmul.py:67:41
	v_or_b32_e32 v123, s100, v64
	s_delay_alu instid0(VALU_DEP_1)
	.loc	1 68 68                         ; persistent_matmul.py:68:68
	v_mul_lo_u32 v122, v123, s19
	.loc	1 69 62                         ; persistent_matmul.py:69:62
	v_cmp_gt_i32_e64 s13, s23, v123
	.loc	1 69 43 is_stmt 0               ; persistent_matmul.py:69:43
	s_and_b32 s14, s10, s13
	.loc	1 68 56 is_stmt 1               ; persistent_matmul.py:68:56
	v_ashrrev_i32_e32 v123, 31, v122
	.loc	1 74 25                         ; persistent_matmul.py:74:25
	s_wait_alu depctr_sa_sdst(0)
	s_and_saveexec_b32 s15, s14
	s_cbranch_execz .LBB0_149
; %bb.148:                              ;   in Loop: Header=BB0_69 Depth=1
	.loc	1 71 31                         ; persistent_matmul.py:71:31
	v_and_b32_e32 v124, 0x7fffffff, v21
	v_lshrrev_b32_e32 v126, 24, v21
	s_delay_alu instid0(VALU_DEP_2) | instskip(SKIP_1) | instid1(VALU_DEP_3)
	v_bfe_u32 v125, v124, 20, 1
	v_cmp_gt_u32_e64 s14, 0x43e80000, v124
	v_and_b32_e32 v126, 0x80, v126
	s_delay_alu instid0(VALU_DEP_3) | instskip(NEXT) | instid1(VALU_DEP_1)
	v_add3_u32 v125, v124, v125, 0x7ffff
	v_and_b32_e32 v125, 0xfff00000, v125
	s_delay_alu instid0(VALU_DEP_1) | instskip(NEXT) | instid1(VALU_DEP_1)
	v_max_u32_e32 v125, 0x3c800000, v125
	v_add_nc_u32_e32 v125, 0x4000000, v125
	s_delay_alu instid0(VALU_DEP_1) | instskip(SKIP_1) | instid1(VALU_DEP_1)
	v_lshrrev_b32_e32 v125, 20, v125
	s_wait_alu depctr_va_sdst(0)
	v_cndmask_b32_e64 v125, 0x7e, v125, s14
	v_cmp_lt_u32_e64 s14, 0x3c6fffff, v124
	s_wait_alu depctr_va_sdst(0)
	s_delay_alu instid0(VALU_DEP_1) | instskip(SKIP_2) | instid1(VALU_DEP_1)
	v_cndmask_b32_e64 v125, 7, v125, s14
	v_cmp_lt_u32_e64 s14, 0x3c500000, v124
	s_wait_alu depctr_va_sdst(0)
	v_cndmask_b32_e64 v125, 6, v125, s14
	v_cmp_lt_u32_e64 s14, 0x3c2fffff, v124
	s_wait_alu depctr_va_sdst(0)
	s_delay_alu instid0(VALU_DEP_1) | instskip(SKIP_2) | instid1(VALU_DEP_1)
	v_cndmask_b32_e64 v125, 5, v125, s14
	v_cmp_lt_u32_e64 s14, 0x3c100000, v124
	;; [unrolled: 7-line block ×4, first 2 shown]
	s_wait_alu depctr_va_sdst(0)
	v_cndmask_b32_e64 v124, 0, v125, s14
	v_cmp_o_f32_e64 s14, v21, v21
	s_wait_alu depctr_va_sdst(0)
	s_delay_alu instid0(VALU_DEP_1) | instskip(SKIP_3) | instid1(VALU_DEP_3)
	v_cndmask_b32_e64 v127, 0x7f, v124, s14
	.loc	1 68 56                         ; persistent_matmul.py:68:56
	v_add_co_u32 v124, s14, v117, v122
	s_wait_alu depctr_va_sdst(0)
	v_add_co_ci_u32_e64 v125, null, v118, v123, s14
	.loc	1 71 31                         ; persistent_matmul.py:71:31
	v_or_b32_e32 v126, v127, v126
	.loc	1 74 25                         ; persistent_matmul.py:74:25
	global_store_b8 v[124:125], v126, off
.LBB0_149:                              ;   in Loop: Header=BB0_69 Depth=1
	.loc	1 0 25 is_stmt 0                ; persistent_matmul.py:0:25
	s_wait_alu depctr_sa_sdst(0)
	s_or_b32 exec_lo, exec_lo, s15
	.loc	1 67 41 is_stmt 1               ; persistent_matmul.py:67:41
	v_or_b32_e32 v125, s100, v65
	s_delay_alu instid0(VALU_DEP_1)
	.loc	1 68 68                         ; persistent_matmul.py:68:68
	v_mul_lo_u32 v124, v125, s19
	.loc	1 69 62                         ; persistent_matmul.py:69:62
	v_cmp_gt_i32_e64 s14, s23, v125
	.loc	1 69 43 is_stmt 0               ; persistent_matmul.py:69:43
	s_and_b32 s15, s10, s14
	.loc	1 68 56 is_stmt 1               ; persistent_matmul.py:68:56
	v_ashrrev_i32_e32 v125, 31, v124
	.loc	1 74 25                         ; persistent_matmul.py:74:25
	s_wait_alu depctr_sa_sdst(0)
	s_and_saveexec_b32 s101, s15
	s_cbranch_execz .LBB0_151
; %bb.150:                              ;   in Loop: Header=BB0_69 Depth=1
	.loc	1 71 31                         ; persistent_matmul.py:71:31
	v_and_b32_e32 v126, 0x7fffffff, v22
	v_lshrrev_b32_e32 v128, 24, v22
	s_delay_alu instid0(VALU_DEP_2) | instskip(SKIP_1) | instid1(VALU_DEP_3)
	v_bfe_u32 v127, v126, 20, 1
	v_cmp_gt_u32_e64 s15, 0x43e80000, v126
	v_and_b32_e32 v128, 0x80, v128
	s_delay_alu instid0(VALU_DEP_3) | instskip(NEXT) | instid1(VALU_DEP_1)
	v_add3_u32 v127, v126, v127, 0x7ffff
	v_and_b32_e32 v127, 0xfff00000, v127
	s_delay_alu instid0(VALU_DEP_1) | instskip(NEXT) | instid1(VALU_DEP_1)
	v_max_u32_e32 v127, 0x3c800000, v127
	v_add_nc_u32_e32 v127, 0x4000000, v127
	s_delay_alu instid0(VALU_DEP_1) | instskip(SKIP_1) | instid1(VALU_DEP_1)
	v_lshrrev_b32_e32 v127, 20, v127
	s_wait_alu depctr_va_sdst(0)
	v_cndmask_b32_e64 v127, 0x7e, v127, s15
	v_cmp_lt_u32_e64 s15, 0x3c6fffff, v126
	s_wait_alu depctr_va_sdst(0)
	s_delay_alu instid0(VALU_DEP_1) | instskip(SKIP_2) | instid1(VALU_DEP_1)
	v_cndmask_b32_e64 v127, 7, v127, s15
	v_cmp_lt_u32_e64 s15, 0x3c500000, v126
	s_wait_alu depctr_va_sdst(0)
	v_cndmask_b32_e64 v127, 6, v127, s15
	v_cmp_lt_u32_e64 s15, 0x3c2fffff, v126
	s_wait_alu depctr_va_sdst(0)
	s_delay_alu instid0(VALU_DEP_1) | instskip(SKIP_2) | instid1(VALU_DEP_1)
	v_cndmask_b32_e64 v127, 5, v127, s15
	v_cmp_lt_u32_e64 s15, 0x3c100000, v126
	;; [unrolled: 7-line block ×4, first 2 shown]
	s_wait_alu depctr_va_sdst(0)
	v_cndmask_b32_e64 v126, 0, v127, s15
	v_cmp_o_f32_e64 s15, v22, v22
	s_wait_alu depctr_va_sdst(0)
	s_delay_alu instid0(VALU_DEP_1) | instskip(SKIP_3) | instid1(VALU_DEP_3)
	v_cndmask_b32_e64 v129, 0x7f, v126, s15
	.loc	1 68 56                         ; persistent_matmul.py:68:56
	v_add_co_u32 v126, s15, v117, v124
	s_wait_alu depctr_va_sdst(0)
	v_add_co_ci_u32_e64 v127, null, v118, v125, s15
	.loc	1 71 31                         ; persistent_matmul.py:71:31
	v_or_b32_e32 v128, v129, v128
	.loc	1 74 25                         ; persistent_matmul.py:74:25
	global_store_b8 v[126:127], v128, off
.LBB0_151:                              ;   in Loop: Header=BB0_69 Depth=1
	.loc	1 0 25 is_stmt 0                ; persistent_matmul.py:0:25
	s_wait_alu depctr_sa_sdst(0)
	s_or_b32 exec_lo, exec_lo, s101
	.loc	1 67 41 is_stmt 1               ; persistent_matmul.py:67:41
	v_or_b32_e32 v127, s100, v66
	s_delay_alu instid0(VALU_DEP_1)
	.loc	1 68 68                         ; persistent_matmul.py:68:68
	v_mul_lo_u32 v126, v127, s19
	.loc	1 69 62                         ; persistent_matmul.py:69:62
	v_cmp_gt_i32_e64 s15, s23, v127
	.loc	1 69 43 is_stmt 0               ; persistent_matmul.py:69:43
	s_and_b32 s10, s10, s15
	.loc	1 68 56 is_stmt 1               ; persistent_matmul.py:68:56
	v_ashrrev_i32_e32 v127, 31, v126
	.loc	1 74 25                         ; persistent_matmul.py:74:25
	s_wait_alu depctr_sa_sdst(0)
	s_and_saveexec_b32 s100, s10
	s_cbranch_execz .LBB0_153
; %bb.152:                              ;   in Loop: Header=BB0_69 Depth=1
	.loc	1 71 31                         ; persistent_matmul.py:71:31
	v_and_b32_e32 v128, 0x7fffffff, v23
	v_lshrrev_b32_e32 v130, 24, v23
	s_delay_alu instid0(VALU_DEP_2) | instskip(SKIP_1) | instid1(VALU_DEP_2)
	v_bfe_u32 v129, v128, 20, 1
	v_cmp_gt_u32_e64 s10, 0x43e80000, v128
	v_add3_u32 v129, v128, v129, 0x7ffff
	s_delay_alu instid0(VALU_DEP_1) | instskip(NEXT) | instid1(VALU_DEP_1)
	v_and_b32_e32 v129, 0xfff00000, v129
	v_max_u32_e32 v129, 0x3c800000, v129
	s_delay_alu instid0(VALU_DEP_1) | instskip(NEXT) | instid1(VALU_DEP_1)
	v_add_nc_u32_e32 v129, 0x4000000, v129
	v_lshrrev_b32_e32 v129, 20, v129
	s_wait_alu depctr_va_sdst(0)
	s_delay_alu instid0(VALU_DEP_1) | instskip(SKIP_2) | instid1(VALU_DEP_1)
	v_cndmask_b32_e64 v129, 0x7e, v129, s10
	v_cmp_lt_u32_e64 s10, 0x3c6fffff, v128
	s_wait_alu depctr_va_sdst(0)
	v_cndmask_b32_e64 v129, 7, v129, s10
	v_cmp_lt_u32_e64 s10, 0x3c500000, v128
	s_wait_alu depctr_va_sdst(0)
	s_delay_alu instid0(VALU_DEP_1) | instskip(SKIP_2) | instid1(VALU_DEP_1)
	v_cndmask_b32_e64 v129, 6, v129, s10
	v_cmp_lt_u32_e64 s10, 0x3c2fffff, v128
	s_wait_alu depctr_va_sdst(0)
	v_cndmask_b32_e64 v129, 5, v129, s10
	v_cmp_lt_u32_e64 s10, 0x3c100000, v128
	s_wait_alu depctr_va_sdst(0)
	s_delay_alu instid0(VALU_DEP_1) | instskip(SKIP_2) | instid1(VALU_DEP_1)
	v_cndmask_b32_e64 v129, 4, v129, s10
	v_cmp_lt_u32_e64 s10, 0x3bdfffff, v128
	s_wait_alu depctr_va_sdst(0)
	v_cndmask_b32_e64 v129, 3, v129, s10
	v_cmp_lt_u32_e64 s10, 0x3ba00000, v128
	s_wait_alu depctr_va_sdst(0)
	s_delay_alu instid0(VALU_DEP_1) | instskip(SKIP_2) | instid1(VALU_DEP_1)
	v_cndmask_b32_e64 v129, 2, v129, s10
	v_cmp_lt_u32_e64 s10, 0x3b3fffff, v128
	s_wait_alu depctr_va_sdst(0)
	v_cndmask_b32_e64 v129, 1, v129, s10
	v_cmp_lt_u32_e64 s10, 0x3a800000, v128
	s_wait_alu depctr_va_sdst(0)
	s_delay_alu instid0(VALU_DEP_1) | instskip(SKIP_3) | instid1(VALU_DEP_2)
	v_cndmask_b32_e64 v128, 0, v129, s10
	v_cmp_o_f32_e64 s10, v23, v23
	v_and_b32_e32 v129, 0x80, v130
	s_wait_alu depctr_va_sdst(0)
	v_cndmask_b32_e64 v128, 0x7f, v128, s10
	.loc	1 68 56                         ; persistent_matmul.py:68:56
	v_add_co_u32 v117, s10, v117, v126
	s_wait_alu depctr_va_sdst(0)
	v_add_co_ci_u32_e64 v118, null, v118, v127, s10
	s_delay_alu instid0(VALU_DEP_3)
	.loc	1 71 31                         ; persistent_matmul.py:71:31
	v_or_b32_e32 v128, v128, v129
	.loc	1 74 25                         ; persistent_matmul.py:74:25
	global_store_b8 v[117:118], v128, off
.LBB0_153:                              ;   in Loop: Header=BB0_69 Depth=1
	.loc	1 0 25 is_stmt 0                ; persistent_matmul.py:0:25
	s_wait_alu depctr_sa_sdst(0)
	s_or_b32 exec_lo, exec_lo, s100
	.loc	1 66 41 is_stmt 1               ; persistent_matmul.py:66:41
	v_or_b32_e32 v117, s16, v51
	s_delay_alu instid0(VALU_DEP_1)
	.loc	1 68 37                         ; persistent_matmul.py:68:37
	v_mul_lo_u32 v118, v117, s18
	.loc	1 69 37                         ; persistent_matmul.py:69:37
	v_cmp_gt_i32_e64 s10, s22, v117
	.loc	1 69 43 is_stmt 0               ; persistent_matmul.py:69:43
	s_and_b32 s100, s10, vcc_lo
	.loc	1 68 25 is_stmt 1               ; persistent_matmul.py:68:25
	v_ashrrev_i32_e32 v128, 31, v118
	v_add_co_u32 v117, s16, s20, v118
	s_wait_alu depctr_va_sdst(0)
	s_delay_alu instid0(VALU_DEP_2)
	v_add_co_ci_u32_e64 v118, null, s21, v128, s16
	.loc	1 74 25                         ; persistent_matmul.py:74:25
	s_wait_alu depctr_sa_sdst(0)
	s_and_saveexec_b32 s16, s100
	s_cbranch_execnz .LBB0_184
; %bb.154:                              ;   in Loop: Header=BB0_69 Depth=1
	.loc	1 0 25 is_stmt 0                ; persistent_matmul.py:0:25
	s_wait_alu depctr_sa_sdst(0)
	s_or_b32 exec_lo, exec_lo, s16
	.loc	1 69 43 is_stmt 1               ; persistent_matmul.py:69:43
	s_and_b32 s16, s10, s0
	.loc	1 74 25                         ; persistent_matmul.py:74:25
	s_wait_alu depctr_sa_sdst(0)
	s_and_saveexec_b32 s0, s16
	s_cbranch_execnz .LBB0_185
.LBB0_155:                              ;   in Loop: Header=BB0_69 Depth=1
	.loc	1 0 25 is_stmt 0                ; persistent_matmul.py:0:25
	s_wait_alu depctr_sa_sdst(0)
	s_or_b32 exec_lo, exec_lo, s0
	.loc	1 69 43 is_stmt 1               ; persistent_matmul.py:69:43
	s_and_b32 s1, s10, s1
	.loc	1 74 25                         ; persistent_matmul.py:74:25
	s_wait_alu depctr_sa_sdst(0)
	s_and_saveexec_b32 s0, s1
	s_cbranch_execnz .LBB0_186
.LBB0_156:                              ;   in Loop: Header=BB0_69 Depth=1
	.loc	1 0 25 is_stmt 0                ; persistent_matmul.py:0:25
	s_wait_alu depctr_sa_sdst(0)
	s_or_b32 exec_lo, exec_lo, s0
	.loc	1 69 43 is_stmt 1               ; persistent_matmul.py:69:43
	s_and_b32 s1, s10, s2
	.loc	1 74 25                         ; persistent_matmul.py:74:25
	s_wait_alu depctr_sa_sdst(0)
	s_and_saveexec_b32 s0, s1
	s_cbranch_execnz .LBB0_187
.LBB0_157:                              ;   in Loop: Header=BB0_69 Depth=1
	.loc	1 0 25 is_stmt 0                ; persistent_matmul.py:0:25
	s_wait_alu depctr_sa_sdst(0)
	s_or_b32 exec_lo, exec_lo, s0
	.loc	1 69 43 is_stmt 1               ; persistent_matmul.py:69:43
	s_and_b32 s1, s10, s3
	.loc	1 74 25                         ; persistent_matmul.py:74:25
	s_wait_alu depctr_sa_sdst(0)
	s_and_saveexec_b32 s0, s1
	s_cbranch_execnz .LBB0_188
.LBB0_158:                              ;   in Loop: Header=BB0_69 Depth=1
	.loc	1 0 25 is_stmt 0                ; persistent_matmul.py:0:25
	s_wait_alu depctr_sa_sdst(0)
	s_or_b32 exec_lo, exec_lo, s0
	.loc	1 69 43 is_stmt 1               ; persistent_matmul.py:69:43
	s_and_b32 s1, s10, s4
	.loc	1 74 25                         ; persistent_matmul.py:74:25
	s_wait_alu depctr_sa_sdst(0)
	s_and_saveexec_b32 s0, s1
	s_cbranch_execnz .LBB0_189
.LBB0_159:                              ;   in Loop: Header=BB0_69 Depth=1
	.loc	1 0 25 is_stmt 0                ; persistent_matmul.py:0:25
	s_wait_alu depctr_sa_sdst(0)
	s_or_b32 exec_lo, exec_lo, s0
	.loc	1 69 43 is_stmt 1               ; persistent_matmul.py:69:43
	s_and_b32 s1, s10, s5
	.loc	1 74 25                         ; persistent_matmul.py:74:25
	s_wait_alu depctr_sa_sdst(0)
	s_and_saveexec_b32 s0, s1
	s_cbranch_execnz .LBB0_190
.LBB0_160:                              ;   in Loop: Header=BB0_69 Depth=1
	.loc	1 0 25 is_stmt 0                ; persistent_matmul.py:0:25
	s_wait_alu depctr_sa_sdst(0)
	s_or_b32 exec_lo, exec_lo, s0
	.loc	1 69 43 is_stmt 1               ; persistent_matmul.py:69:43
	s_and_b32 s1, s10, s6
	.loc	1 74 25                         ; persistent_matmul.py:74:25
	s_wait_alu depctr_sa_sdst(0)
	s_and_saveexec_b32 s0, s1
	s_cbranch_execnz .LBB0_191
.LBB0_161:                              ;   in Loop: Header=BB0_69 Depth=1
	.loc	1 0 25 is_stmt 0                ; persistent_matmul.py:0:25
	s_wait_alu depctr_sa_sdst(0)
	s_or_b32 exec_lo, exec_lo, s0
	.loc	1 69 43 is_stmt 1               ; persistent_matmul.py:69:43
	s_and_b32 s1, s10, s7
	.loc	1 74 25                         ; persistent_matmul.py:74:25
	s_wait_alu depctr_sa_sdst(0)
	s_and_saveexec_b32 s0, s1
	s_cbranch_execnz .LBB0_192
.LBB0_162:                              ;   in Loop: Header=BB0_69 Depth=1
	.loc	1 0 25 is_stmt 0                ; persistent_matmul.py:0:25
	s_wait_alu depctr_sa_sdst(0)
	s_or_b32 exec_lo, exec_lo, s0
	.loc	1 69 43 is_stmt 1               ; persistent_matmul.py:69:43
	s_and_b32 s1, s10, s8
	.loc	1 74 25                         ; persistent_matmul.py:74:25
	s_wait_alu depctr_sa_sdst(0)
	s_and_saveexec_b32 s0, s1
	s_cbranch_execnz .LBB0_193
.LBB0_163:                              ;   in Loop: Header=BB0_69 Depth=1
	.loc	1 0 25 is_stmt 0                ; persistent_matmul.py:0:25
	s_wait_alu depctr_sa_sdst(0)
	s_or_b32 exec_lo, exec_lo, s0
	.loc	1 69 43 is_stmt 1               ; persistent_matmul.py:69:43
	s_and_b32 s1, s10, s9
	.loc	1 74 25                         ; persistent_matmul.py:74:25
	s_wait_alu depctr_sa_sdst(0)
	s_and_saveexec_b32 s0, s1
	s_cbranch_execnz .LBB0_194
.LBB0_164:                              ;   in Loop: Header=BB0_69 Depth=1
	.loc	1 0 25 is_stmt 0                ; persistent_matmul.py:0:25
	s_wait_alu depctr_sa_sdst(0)
	s_or_b32 exec_lo, exec_lo, s0
	.loc	1 69 43 is_stmt 1               ; persistent_matmul.py:69:43
	s_and_b32 s1, s10, s11
	.loc	1 74 25                         ; persistent_matmul.py:74:25
	s_wait_alu depctr_sa_sdst(0)
	s_and_saveexec_b32 s0, s1
	s_cbranch_execnz .LBB0_195
.LBB0_165:                              ;   in Loop: Header=BB0_69 Depth=1
	.loc	1 0 25 is_stmt 0                ; persistent_matmul.py:0:25
	s_wait_alu depctr_sa_sdst(0)
	s_or_b32 exec_lo, exec_lo, s0
	.loc	1 69 43 is_stmt 1               ; persistent_matmul.py:69:43
	s_and_b32 s1, s10, s12
	.loc	1 74 25                         ; persistent_matmul.py:74:25
	s_wait_alu depctr_sa_sdst(0)
	s_and_saveexec_b32 s0, s1
	s_cbranch_execnz .LBB0_196
.LBB0_166:                              ;   in Loop: Header=BB0_69 Depth=1
	.loc	1 0 25 is_stmt 0                ; persistent_matmul.py:0:25
	s_wait_alu depctr_sa_sdst(0)
	s_or_b32 exec_lo, exec_lo, s0
	.loc	1 69 43 is_stmt 1               ; persistent_matmul.py:69:43
	s_and_b32 s1, s10, s13
	.loc	1 74 25                         ; persistent_matmul.py:74:25
	s_wait_alu depctr_sa_sdst(0)
	s_and_saveexec_b32 s0, s1
	s_cbranch_execnz .LBB0_197
.LBB0_167:                              ;   in Loop: Header=BB0_69 Depth=1
	.loc	1 0 25 is_stmt 0                ; persistent_matmul.py:0:25
	s_wait_alu depctr_sa_sdst(0)
	s_or_b32 exec_lo, exec_lo, s0
	.loc	1 69 43 is_stmt 1               ; persistent_matmul.py:69:43
	s_and_b32 s1, s10, s14
	.loc	1 74 25                         ; persistent_matmul.py:74:25
	s_wait_alu depctr_sa_sdst(0)
	s_and_saveexec_b32 s0, s1
	s_cbranch_execnz .LBB0_198
.LBB0_168:                              ;   in Loop: Header=BB0_69 Depth=1
	.loc	1 0 25 is_stmt 0                ; persistent_matmul.py:0:25
	s_wait_alu depctr_sa_sdst(0)
	s_or_b32 exec_lo, exec_lo, s0
	.loc	1 69 43 is_stmt 1               ; persistent_matmul.py:69:43
	s_and_b32 s1, s10, s15
	.loc	1 74 25                         ; persistent_matmul.py:74:25
	s_wait_alu depctr_sa_sdst(0)
	s_and_saveexec_b32 s0, s1
	s_cbranch_execz .LBB0_67
	s_branch .LBB0_199
.LBB0_169:                              ;   in Loop: Header=BB0_69 Depth=1
	.loc	1 56 41                         ; persistent_matmul.py:56:41
	s_or_b32 s0, s1, s73
	.loc	1 58 60                         ; persistent_matmul.py:58:60
	s_wait_alu depctr_sa_sdst(0)
	v_mad_co_u64_u32 v[95:96], null, s0, s71, v[48:49]
	s_delay_alu instid0(VALU_DEP_1) | instskip(NEXT) | instid1(VALU_DEP_1)
	.loc	1 58 30 is_stmt 0               ; persistent_matmul.py:58:30
	v_ashrrev_i32_e32 v96, 31, v95
	v_lshlrev_b64_e32 v[95:96], 1, v[95:96]
	s_delay_alu instid0(VALU_DEP_1) | instskip(SKIP_1) | instid1(VALU_DEP_2)
	v_add_co_u32 v95, vcc_lo, s30, v95
	s_wait_alu depctr_va_vcc(0)
	v_add_co_ci_u32_e64 v96, null, s31, v96, vcc_lo
	.loc	1 61 24 is_stmt 1               ; persistent_matmul.py:61:24
	global_load_u16 v95, v[95:96], off
	.loc	1 61 64 is_stmt 0               ; persistent_matmul.py:61:64
	s_cmp_ge_i32 s75, s2
	.loc	1 61 24                         ; persistent_matmul.py:61:24
	s_cbranch_scc1 .LBB0_105
.LBB0_170:                              ;   in Loop: Header=BB0_69 Depth=1
	.loc	1 56 41 is_stmt 1               ; persistent_matmul.py:56:41
	s_or_b32 s0, s1, s75
	.loc	1 58 60                         ; persistent_matmul.py:58:60
	s_wait_alu depctr_sa_sdst(0)
	v_mad_co_u64_u32 v[96:97], null, s0, s71, v[48:49]
	s_delay_alu instid0(VALU_DEP_1) | instskip(NEXT) | instid1(VALU_DEP_1)
	.loc	1 58 30 is_stmt 0               ; persistent_matmul.py:58:30
	v_ashrrev_i32_e32 v97, 31, v96
	v_lshlrev_b64_e32 v[96:97], 1, v[96:97]
	s_delay_alu instid0(VALU_DEP_1) | instskip(SKIP_1) | instid1(VALU_DEP_2)
	v_add_co_u32 v96, vcc_lo, s30, v96
	s_wait_alu depctr_va_vcc(0)
	v_add_co_ci_u32_e64 v97, null, s31, v97, vcc_lo
	.loc	1 61 24 is_stmt 1               ; persistent_matmul.py:61:24
	global_load_u16 v94, v[96:97], off
	v_dual_mov_b32 v96, 0 :: v_dual_mov_b32 v97, 0
	.loc	1 61 64 is_stmt 0               ; persistent_matmul.py:61:64
	s_cmp_ge_i32 s77, s2
	.loc	1 61 24                         ; persistent_matmul.py:61:24
	s_cbranch_scc1 .LBB0_106
.LBB0_171:                              ;   in Loop: Header=BB0_69 Depth=1
	.loc	1 56 41 is_stmt 1               ; persistent_matmul.py:56:41
	s_or_b32 s0, s1, s77
	.loc	1 58 60                         ; persistent_matmul.py:58:60
	s_wait_alu depctr_sa_sdst(0)
	v_mad_co_u64_u32 v[97:98], null, s0, s71, v[48:49]
	s_delay_alu instid0(VALU_DEP_1) | instskip(NEXT) | instid1(VALU_DEP_1)
	.loc	1 58 30 is_stmt 0               ; persistent_matmul.py:58:30
	v_ashrrev_i32_e32 v98, 31, v97
	v_lshlrev_b64_e32 v[97:98], 1, v[97:98]
	s_delay_alu instid0(VALU_DEP_1) | instskip(SKIP_1) | instid1(VALU_DEP_2)
	v_add_co_u32 v97, vcc_lo, s30, v97
	s_wait_alu depctr_va_vcc(0)
	v_add_co_ci_u32_e64 v98, null, s31, v98, vcc_lo
	.loc	1 61 24 is_stmt 1               ; persistent_matmul.py:61:24
	global_load_u16 v97, v[97:98], off
	.loc	1 61 64 is_stmt 0               ; persistent_matmul.py:61:64
	s_cmp_ge_i32 s79, s2
	.loc	1 61 24                         ; persistent_matmul.py:61:24
	s_cbranch_scc1 .LBB0_107
.LBB0_172:                              ;   in Loop: Header=BB0_69 Depth=1
	.loc	1 56 41 is_stmt 1               ; persistent_matmul.py:56:41
	s_or_b32 s0, s1, s79
	.loc	1 58 60                         ; persistent_matmul.py:58:60
	s_wait_alu depctr_sa_sdst(0)
	v_mad_co_u64_u32 v[98:99], null, s0, s71, v[48:49]
	s_delay_alu instid0(VALU_DEP_1) | instskip(NEXT) | instid1(VALU_DEP_1)
	.loc	1 58 30 is_stmt 0               ; persistent_matmul.py:58:30
	v_ashrrev_i32_e32 v99, 31, v98
	v_lshlrev_b64_e32 v[98:99], 1, v[98:99]
	s_delay_alu instid0(VALU_DEP_1) | instskip(SKIP_1) | instid1(VALU_DEP_2)
	v_add_co_u32 v98, vcc_lo, s30, v98
	s_wait_alu depctr_va_vcc(0)
	v_add_co_ci_u32_e64 v99, null, s31, v99, vcc_lo
	.loc	1 61 24 is_stmt 1               ; persistent_matmul.py:61:24
	global_load_u16 v96, v[98:99], off
	v_dual_mov_b32 v98, 0 :: v_dual_mov_b32 v99, 0
	.loc	1 61 64 is_stmt 0               ; persistent_matmul.py:61:64
	s_cmp_ge_i32 s81, s2
	.loc	1 61 24                         ; persistent_matmul.py:61:24
	s_cbranch_scc1 .LBB0_108
.LBB0_173:                              ;   in Loop: Header=BB0_69 Depth=1
	.loc	1 56 41 is_stmt 1               ; persistent_matmul.py:56:41
	s_or_b32 s0, s1, s81
	.loc	1 58 60                         ; persistent_matmul.py:58:60
	s_wait_alu depctr_sa_sdst(0)
	v_mad_co_u64_u32 v[99:100], null, s0, s71, v[48:49]
	s_delay_alu instid0(VALU_DEP_1) | instskip(NEXT) | instid1(VALU_DEP_1)
	.loc	1 58 30 is_stmt 0               ; persistent_matmul.py:58:30
	v_ashrrev_i32_e32 v100, 31, v99
	v_lshlrev_b64_e32 v[99:100], 1, v[99:100]
	s_delay_alu instid0(VALU_DEP_1) | instskip(SKIP_1) | instid1(VALU_DEP_2)
	v_add_co_u32 v99, vcc_lo, s30, v99
	s_wait_alu depctr_va_vcc(0)
	v_add_co_ci_u32_e64 v100, null, s31, v100, vcc_lo
	.loc	1 61 24 is_stmt 1               ; persistent_matmul.py:61:24
	global_load_u16 v99, v[99:100], off
	.loc	1 61 64 is_stmt 0               ; persistent_matmul.py:61:64
	s_cmp_ge_i32 s83, s2
	.loc	1 61 24                         ; persistent_matmul.py:61:24
	s_cbranch_scc1 .LBB0_109
.LBB0_174:                              ;   in Loop: Header=BB0_69 Depth=1
	.loc	1 56 41 is_stmt 1               ; persistent_matmul.py:56:41
	s_or_b32 s0, s1, s83
	.loc	1 58 60                         ; persistent_matmul.py:58:60
	s_wait_alu depctr_sa_sdst(0)
	v_mad_co_u64_u32 v[100:101], null, s0, s71, v[48:49]
	s_delay_alu instid0(VALU_DEP_1) | instskip(NEXT) | instid1(VALU_DEP_1)
	.loc	1 58 30 is_stmt 0               ; persistent_matmul.py:58:30
	v_ashrrev_i32_e32 v101, 31, v100
	v_lshlrev_b64_e32 v[100:101], 1, v[100:101]
	s_delay_alu instid0(VALU_DEP_1) | instskip(SKIP_1) | instid1(VALU_DEP_2)
	v_add_co_u32 v100, vcc_lo, s30, v100
	s_wait_alu depctr_va_vcc(0)
	v_add_co_ci_u32_e64 v101, null, s31, v101, vcc_lo
	.loc	1 61 24 is_stmt 1               ; persistent_matmul.py:61:24
	global_load_u16 v98, v[100:101], off
	v_dual_mov_b32 v100, 0 :: v_dual_mov_b32 v101, 0
	.loc	1 61 64 is_stmt 0               ; persistent_matmul.py:61:64
	s_cmp_ge_i32 s85, s2
	.loc	1 61 24                         ; persistent_matmul.py:61:24
	s_cbranch_scc1 .LBB0_110
.LBB0_175:                              ;   in Loop: Header=BB0_69 Depth=1
	.loc	1 56 41 is_stmt 1               ; persistent_matmul.py:56:41
	s_or_b32 s0, s1, s85
	.loc	1 58 60                         ; persistent_matmul.py:58:60
	s_wait_alu depctr_sa_sdst(0)
	v_mad_co_u64_u32 v[101:102], null, s0, s71, v[48:49]
	s_delay_alu instid0(VALU_DEP_1) | instskip(NEXT) | instid1(VALU_DEP_1)
	.loc	1 58 30 is_stmt 0               ; persistent_matmul.py:58:30
	v_ashrrev_i32_e32 v102, 31, v101
	v_lshlrev_b64_e32 v[101:102], 1, v[101:102]
	s_delay_alu instid0(VALU_DEP_1) | instskip(SKIP_1) | instid1(VALU_DEP_2)
	v_add_co_u32 v101, vcc_lo, s30, v101
	s_wait_alu depctr_va_vcc(0)
	v_add_co_ci_u32_e64 v102, null, s31, v102, vcc_lo
	.loc	1 61 24 is_stmt 1               ; persistent_matmul.py:61:24
	global_load_u16 v101, v[101:102], off
	.loc	1 61 64 is_stmt 0               ; persistent_matmul.py:61:64
	s_cmp_ge_i32 s86, s2
	.loc	1 61 24                         ; persistent_matmul.py:61:24
	s_cbranch_scc1 .LBB0_111
.LBB0_176:                              ;   in Loop: Header=BB0_69 Depth=1
	.loc	1 56 41 is_stmt 1               ; persistent_matmul.py:56:41
	s_or_b32 s0, s1, s86
	.loc	1 58 60                         ; persistent_matmul.py:58:60
	s_wait_alu depctr_sa_sdst(0)
	v_mad_co_u64_u32 v[102:103], null, s0, s71, v[48:49]
	s_delay_alu instid0(VALU_DEP_1) | instskip(NEXT) | instid1(VALU_DEP_1)
	.loc	1 58 30 is_stmt 0               ; persistent_matmul.py:58:30
	v_ashrrev_i32_e32 v103, 31, v102
	v_lshlrev_b64_e32 v[102:103], 1, v[102:103]
	s_delay_alu instid0(VALU_DEP_1) | instskip(SKIP_1) | instid1(VALU_DEP_2)
	v_add_co_u32 v102, vcc_lo, s30, v102
	s_wait_alu depctr_va_vcc(0)
	v_add_co_ci_u32_e64 v103, null, s31, v103, vcc_lo
	.loc	1 61 24 is_stmt 1               ; persistent_matmul.py:61:24
	global_load_u16 v100, v[102:103], off
	v_dual_mov_b32 v102, 0 :: v_dual_mov_b32 v103, 0
	.loc	1 61 64 is_stmt 0               ; persistent_matmul.py:61:64
	s_cmp_ge_i32 s87, s2
	.loc	1 61 24                         ; persistent_matmul.py:61:24
	s_cbranch_scc1 .LBB0_112
.LBB0_177:                              ;   in Loop: Header=BB0_69 Depth=1
	.loc	1 56 41 is_stmt 1               ; persistent_matmul.py:56:41
	s_or_b32 s0, s1, s87
	.loc	1 58 60                         ; persistent_matmul.py:58:60
	s_wait_alu depctr_sa_sdst(0)
	v_mad_co_u64_u32 v[103:104], null, s0, s71, v[48:49]
	s_delay_alu instid0(VALU_DEP_1) | instskip(NEXT) | instid1(VALU_DEP_1)
	.loc	1 58 30 is_stmt 0               ; persistent_matmul.py:58:30
	v_ashrrev_i32_e32 v104, 31, v103
	v_lshlrev_b64_e32 v[103:104], 1, v[103:104]
	s_delay_alu instid0(VALU_DEP_1) | instskip(SKIP_1) | instid1(VALU_DEP_2)
	v_add_co_u32 v103, vcc_lo, s30, v103
	s_wait_alu depctr_va_vcc(0)
	v_add_co_ci_u32_e64 v104, null, s31, v104, vcc_lo
	.loc	1 61 24 is_stmt 1               ; persistent_matmul.py:61:24
	global_load_u16 v103, v[103:104], off
	.loc	1 61 64 is_stmt 0               ; persistent_matmul.py:61:64
	s_cmp_ge_i32 s88, s2
	.loc	1 61 24                         ; persistent_matmul.py:61:24
	s_cbranch_scc1 .LBB0_113
.LBB0_178:                              ;   in Loop: Header=BB0_69 Depth=1
	.loc	1 56 41 is_stmt 1               ; persistent_matmul.py:56:41
	s_or_b32 s0, s1, s88
	.loc	1 58 60                         ; persistent_matmul.py:58:60
	s_wait_alu depctr_sa_sdst(0)
	v_mad_co_u64_u32 v[104:105], null, s0, s71, v[48:49]
	s_delay_alu instid0(VALU_DEP_1) | instskip(NEXT) | instid1(VALU_DEP_1)
	.loc	1 58 30 is_stmt 0               ; persistent_matmul.py:58:30
	v_ashrrev_i32_e32 v105, 31, v104
	v_lshlrev_b64_e32 v[104:105], 1, v[104:105]
	s_delay_alu instid0(VALU_DEP_1) | instskip(SKIP_1) | instid1(VALU_DEP_2)
	v_add_co_u32 v104, vcc_lo, s30, v104
	s_wait_alu depctr_va_vcc(0)
	v_add_co_ci_u32_e64 v105, null, s31, v105, vcc_lo
	.loc	1 61 24 is_stmt 1               ; persistent_matmul.py:61:24
	global_load_u16 v102, v[104:105], off
	v_dual_mov_b32 v104, 0 :: v_dual_mov_b32 v105, 0
	.loc	1 61 64 is_stmt 0               ; persistent_matmul.py:61:64
	s_cmp_ge_i32 s89, s2
	.loc	1 61 24                         ; persistent_matmul.py:61:24
	s_cbranch_scc1 .LBB0_114
.LBB0_179:                              ;   in Loop: Header=BB0_69 Depth=1
	.loc	1 56 41 is_stmt 1               ; persistent_matmul.py:56:41
	s_or_b32 s0, s1, s89
	.loc	1 58 60                         ; persistent_matmul.py:58:60
	s_wait_alu depctr_sa_sdst(0)
	v_mad_co_u64_u32 v[105:106], null, s0, s71, v[48:49]
	s_delay_alu instid0(VALU_DEP_1) | instskip(NEXT) | instid1(VALU_DEP_1)
	.loc	1 58 30 is_stmt 0               ; persistent_matmul.py:58:30
	v_ashrrev_i32_e32 v106, 31, v105
	v_lshlrev_b64_e32 v[105:106], 1, v[105:106]
	s_delay_alu instid0(VALU_DEP_1) | instskip(SKIP_1) | instid1(VALU_DEP_2)
	v_add_co_u32 v105, vcc_lo, s30, v105
	s_wait_alu depctr_va_vcc(0)
	v_add_co_ci_u32_e64 v106, null, s31, v106, vcc_lo
	.loc	1 61 24 is_stmt 1               ; persistent_matmul.py:61:24
	global_load_u16 v105, v[105:106], off
	.loc	1 61 64 is_stmt 0               ; persistent_matmul.py:61:64
	s_cmp_ge_i32 s90, s2
	.loc	1 61 24                         ; persistent_matmul.py:61:24
	s_cbranch_scc1 .LBB0_115
.LBB0_180:                              ;   in Loop: Header=BB0_69 Depth=1
	.loc	1 56 41 is_stmt 1               ; persistent_matmul.py:56:41
	s_or_b32 s0, s1, s90
	.loc	1 58 60                         ; persistent_matmul.py:58:60
	s_wait_alu depctr_sa_sdst(0)
	v_mad_co_u64_u32 v[106:107], null, s0, s71, v[48:49]
	s_delay_alu instid0(VALU_DEP_1) | instskip(NEXT) | instid1(VALU_DEP_1)
	.loc	1 58 30 is_stmt 0               ; persistent_matmul.py:58:30
	v_ashrrev_i32_e32 v107, 31, v106
	v_lshlrev_b64_e32 v[106:107], 1, v[106:107]
	s_delay_alu instid0(VALU_DEP_1) | instskip(SKIP_1) | instid1(VALU_DEP_2)
	v_add_co_u32 v106, vcc_lo, s30, v106
	s_wait_alu depctr_va_vcc(0)
	v_add_co_ci_u32_e64 v107, null, s31, v107, vcc_lo
	.loc	1 61 24 is_stmt 1               ; persistent_matmul.py:61:24
	global_load_u16 v104, v[106:107], off
	v_dual_mov_b32 v106, 0 :: v_dual_mov_b32 v107, 0
	.loc	1 61 64 is_stmt 0               ; persistent_matmul.py:61:64
	s_cmp_ge_i32 s91, s2
	.loc	1 61 24                         ; persistent_matmul.py:61:24
	s_cbranch_scc1 .LBB0_116
.LBB0_181:                              ;   in Loop: Header=BB0_69 Depth=1
	.loc	1 56 41 is_stmt 1               ; persistent_matmul.py:56:41
	s_or_b32 s0, s1, s91
	.loc	1 58 60                         ; persistent_matmul.py:58:60
	s_wait_alu depctr_sa_sdst(0)
	v_mad_co_u64_u32 v[107:108], null, s0, s71, v[48:49]
	s_delay_alu instid0(VALU_DEP_1) | instskip(NEXT) | instid1(VALU_DEP_1)
	.loc	1 58 30 is_stmt 0               ; persistent_matmul.py:58:30
	v_ashrrev_i32_e32 v108, 31, v107
	v_lshlrev_b64_e32 v[107:108], 1, v[107:108]
	s_delay_alu instid0(VALU_DEP_1) | instskip(SKIP_1) | instid1(VALU_DEP_2)
	v_add_co_u32 v107, vcc_lo, s30, v107
	s_wait_alu depctr_va_vcc(0)
	v_add_co_ci_u32_e64 v108, null, s31, v108, vcc_lo
	.loc	1 61 24 is_stmt 1               ; persistent_matmul.py:61:24
	global_load_u16 v107, v[107:108], off
	.loc	1 61 64 is_stmt 0               ; persistent_matmul.py:61:64
	s_cmp_ge_i32 s92, s2
	.loc	1 61 24                         ; persistent_matmul.py:61:24
	s_cbranch_scc1 .LBB0_117
.LBB0_182:                              ;   in Loop: Header=BB0_69 Depth=1
	.loc	1 56 41 is_stmt 1               ; persistent_matmul.py:56:41
	s_or_b32 s0, s1, s92
	.loc	1 58 60                         ; persistent_matmul.py:58:60
	s_wait_alu depctr_sa_sdst(0)
	v_mad_co_u64_u32 v[108:109], null, s0, s71, v[48:49]
	s_delay_alu instid0(VALU_DEP_1) | instskip(NEXT) | instid1(VALU_DEP_1)
	.loc	1 58 30 is_stmt 0               ; persistent_matmul.py:58:30
	v_ashrrev_i32_e32 v109, 31, v108
	v_lshlrev_b64_e32 v[108:109], 1, v[108:109]
	s_delay_alu instid0(VALU_DEP_1) | instskip(SKIP_1) | instid1(VALU_DEP_2)
	v_add_co_u32 v108, vcc_lo, s30, v108
	s_wait_alu depctr_va_vcc(0)
	v_add_co_ci_u32_e64 v109, null, s31, v109, vcc_lo
	.loc	1 61 24 is_stmt 1               ; persistent_matmul.py:61:24
	global_load_u16 v106, v[108:109], off
	v_dual_mov_b32 v108, 0 :: v_dual_mov_b32 v109, 0
	.loc	1 61 64 is_stmt 0               ; persistent_matmul.py:61:64
	s_cmp_ge_i32 s93, s2
	.loc	1 61 24                         ; persistent_matmul.py:61:24
	s_cbranch_scc1 .LBB0_118
.LBB0_183:                              ;   in Loop: Header=BB0_69 Depth=1
	.loc	1 56 41 is_stmt 1               ; persistent_matmul.py:56:41
	s_or_b32 s0, s1, s93
	.loc	1 58 60                         ; persistent_matmul.py:58:60
	s_wait_alu depctr_sa_sdst(0)
	v_mad_co_u64_u32 v[109:110], null, s0, s71, v[48:49]
	s_delay_alu instid0(VALU_DEP_1) | instskip(NEXT) | instid1(VALU_DEP_1)
	.loc	1 58 30 is_stmt 0               ; persistent_matmul.py:58:30
	v_ashrrev_i32_e32 v110, 31, v109
	v_lshlrev_b64_e32 v[109:110], 1, v[109:110]
	s_delay_alu instid0(VALU_DEP_1) | instskip(SKIP_1) | instid1(VALU_DEP_2)
	v_add_co_u32 v109, vcc_lo, s30, v109
	s_wait_alu depctr_va_vcc(0)
	v_add_co_ci_u32_e64 v110, null, s31, v110, vcc_lo
	.loc	1 61 24 is_stmt 1               ; persistent_matmul.py:61:24
	global_load_u16 v109, v[109:110], off
	.loc	1 61 64 is_stmt 0               ; persistent_matmul.py:61:64
	s_cmp_ge_i32 s94, s2
	.loc	1 61 24                         ; persistent_matmul.py:61:24
	s_cbranch_scc0 .LBB0_119
	s_branch .LBB0_120
.LBB0_184:                              ;   in Loop: Header=BB0_69 Depth=1
	.loc	1 71 31 is_stmt 1               ; persistent_matmul.py:71:31
	v_and_b32_e32 v128, 0x7fffffff, v8
	v_lshrrev_b32_e32 v130, 24, v8
	s_delay_alu instid0(VALU_DEP_2) | instskip(SKIP_1) | instid1(VALU_DEP_2)
	v_bfe_u32 v129, v128, 20, 1
	v_cmp_gt_u32_e32 vcc_lo, 0x43e80000, v128
	v_add3_u32 v129, v128, v129, 0x7ffff
	s_delay_alu instid0(VALU_DEP_1) | instskip(NEXT) | instid1(VALU_DEP_1)
	v_and_b32_e32 v129, 0xfff00000, v129
	v_max_u32_e32 v129, 0x3c800000, v129
	s_delay_alu instid0(VALU_DEP_1) | instskip(NEXT) | instid1(VALU_DEP_1)
	v_add_nc_u32_e32 v129, 0x4000000, v129
	v_lshrrev_b32_e32 v129, 20, v129
	s_wait_alu depctr_va_vcc(0)
	s_delay_alu instid0(VALU_DEP_1) | instskip(SKIP_2) | instid1(VALU_DEP_2)
	v_cndmask_b32_e32 v129, 0x7e, v129, vcc_lo
	v_cmp_lt_u32_e32 vcc_lo, 0x3c6fffff, v128
	s_wait_alu depctr_va_vcc(0)
	v_cndmask_b32_e32 v129, 7, v129, vcc_lo
	v_cmp_lt_u32_e32 vcc_lo, 0x3c500000, v128
	s_wait_alu depctr_va_vcc(0)
	s_delay_alu instid0(VALU_DEP_2) | instskip(SKIP_2) | instid1(VALU_DEP_2)
	v_cndmask_b32_e32 v129, 6, v129, vcc_lo
	v_cmp_lt_u32_e32 vcc_lo, 0x3c2fffff, v128
	s_wait_alu depctr_va_vcc(0)
	v_cndmask_b32_e32 v129, 5, v129, vcc_lo
	v_cmp_lt_u32_e32 vcc_lo, 0x3c100000, v128
	s_wait_alu depctr_va_vcc(0)
	s_delay_alu instid0(VALU_DEP_2) | instskip(SKIP_2) | instid1(VALU_DEP_2)
	;; [unrolled: 7-line block ×4, first 2 shown]
	v_dual_cndmask_b32 v128, 0, v129 :: v_dual_and_b32 v129, 0x80, v130
	v_cmp_o_f32_e32 vcc_lo, v8, v8
	s_wait_alu depctr_va_vcc(0)
	v_cndmask_b32_e32 v128, 0x7f, v128, vcc_lo
	.loc	1 68 56                         ; persistent_matmul.py:68:56
	v_add_co_u32 v32, vcc_lo, v117, v32
	s_wait_alu depctr_va_vcc(0)
	v_add_co_ci_u32_e64 v33, null, v118, v33, vcc_lo
	s_delay_alu instid0(VALU_DEP_3)
	.loc	1 71 31                         ; persistent_matmul.py:71:31
	v_or_b32_e32 v128, v128, v129
	.loc	1 74 25                         ; persistent_matmul.py:74:25
	global_store_b8 v[32:33], v128, off
	s_wait_alu depctr_sa_sdst(0)
	s_or_b32 exec_lo, exec_lo, s16
	.loc	1 69 43                         ; persistent_matmul.py:69:43
	s_and_b32 s16, s10, s0
	.loc	1 74 25                         ; persistent_matmul.py:74:25
	s_wait_alu depctr_sa_sdst(0)
	s_and_saveexec_b32 s0, s16
	s_cbranch_execz .LBB0_155
.LBB0_185:                              ;   in Loop: Header=BB0_69 Depth=1
	.loc	1 71 31                         ; persistent_matmul.py:71:31
	v_and_b32_e32 v32, 0x7fffffff, v9
	v_lshrrev_b32_e32 v128, 24, v9
	s_delay_alu instid0(VALU_DEP_2) | instskip(SKIP_1) | instid1(VALU_DEP_3)
	v_bfe_u32 v33, v32, 20, 1
	v_cmp_gt_u32_e32 vcc_lo, 0x43e80000, v32
	v_and_b32_e32 v128, 0x80, v128
	s_delay_alu instid0(VALU_DEP_3) | instskip(NEXT) | instid1(VALU_DEP_1)
	v_add3_u32 v33, v32, v33, 0x7ffff
	v_and_b32_e32 v33, 0xfff00000, v33
	s_delay_alu instid0(VALU_DEP_1) | instskip(NEXT) | instid1(VALU_DEP_1)
	v_max_u32_e32 v33, 0x3c800000, v33
	v_add_nc_u32_e32 v33, 0x4000000, v33
	s_delay_alu instid0(VALU_DEP_1) | instskip(SKIP_1) | instid1(VALU_DEP_1)
	v_lshrrev_b32_e32 v33, 20, v33
	s_wait_alu depctr_va_vcc(0)
	v_cndmask_b32_e32 v33, 0x7e, v33, vcc_lo
	v_cmp_lt_u32_e32 vcc_lo, 0x3c6fffff, v32
	s_wait_alu depctr_va_vcc(0)
	s_delay_alu instid0(VALU_DEP_2) | instskip(SKIP_2) | instid1(VALU_DEP_2)
	v_cndmask_b32_e32 v33, 7, v33, vcc_lo
	v_cmp_lt_u32_e32 vcc_lo, 0x3c500000, v32
	s_wait_alu depctr_va_vcc(0)
	v_cndmask_b32_e32 v33, 6, v33, vcc_lo
	v_cmp_lt_u32_e32 vcc_lo, 0x3c2fffff, v32
	s_wait_alu depctr_va_vcc(0)
	s_delay_alu instid0(VALU_DEP_2) | instskip(SKIP_2) | instid1(VALU_DEP_2)
	v_cndmask_b32_e32 v33, 5, v33, vcc_lo
	v_cmp_lt_u32_e32 vcc_lo, 0x3c100000, v32
	;; [unrolled: 7-line block ×4, first 2 shown]
	s_wait_alu depctr_va_vcc(0)
	v_cndmask_b32_e32 v32, 0, v33, vcc_lo
	v_cmp_o_f32_e32 vcc_lo, v9, v9
	s_wait_alu depctr_va_vcc(0)
	s_delay_alu instid0(VALU_DEP_2) | instskip(SKIP_3) | instid1(VALU_DEP_3)
	v_cndmask_b32_e32 v129, 0x7f, v32, vcc_lo
	.loc	1 68 56                         ; persistent_matmul.py:68:56
	v_add_co_u32 v32, vcc_lo, v117, v34
	s_wait_alu depctr_va_vcc(0)
	v_add_co_ci_u32_e64 v33, null, v118, v35, vcc_lo
	.loc	1 71 31                         ; persistent_matmul.py:71:31
	v_or_b32_e32 v34, v129, v128
	.loc	1 74 25                         ; persistent_matmul.py:74:25
	global_store_b8 v[32:33], v34, off
	s_wait_alu depctr_sa_sdst(0)
	s_or_b32 exec_lo, exec_lo, s0
	.loc	1 69 43                         ; persistent_matmul.py:69:43
	s_and_b32 s1, s10, s1
	.loc	1 74 25                         ; persistent_matmul.py:74:25
	s_wait_alu depctr_sa_sdst(0)
	s_and_saveexec_b32 s0, s1
	s_cbranch_execz .LBB0_156
.LBB0_186:                              ;   in Loop: Header=BB0_69 Depth=1
	.loc	1 71 31                         ; persistent_matmul.py:71:31
	v_and_b32_e32 v32, 0x7fffffff, v10
	v_lshrrev_b32_e32 v34, 24, v10
	s_delay_alu instid0(VALU_DEP_2) | instskip(SKIP_1) | instid1(VALU_DEP_3)
	v_bfe_u32 v33, v32, 20, 1
	v_cmp_gt_u32_e32 vcc_lo, 0x43e80000, v32
	v_and_b32_e32 v34, 0x80, v34
	s_delay_alu instid0(VALU_DEP_3) | instskip(NEXT) | instid1(VALU_DEP_1)
	v_add3_u32 v33, v32, v33, 0x7ffff
	v_and_b32_e32 v33, 0xfff00000, v33
	s_delay_alu instid0(VALU_DEP_1) | instskip(NEXT) | instid1(VALU_DEP_1)
	v_max_u32_e32 v33, 0x3c800000, v33
	v_add_nc_u32_e32 v33, 0x4000000, v33
	s_delay_alu instid0(VALU_DEP_1) | instskip(SKIP_1) | instid1(VALU_DEP_1)
	v_lshrrev_b32_e32 v33, 20, v33
	s_wait_alu depctr_va_vcc(0)
	v_cndmask_b32_e32 v33, 0x7e, v33, vcc_lo
	v_cmp_lt_u32_e32 vcc_lo, 0x3c6fffff, v32
	s_wait_alu depctr_va_vcc(0)
	s_delay_alu instid0(VALU_DEP_2) | instskip(SKIP_2) | instid1(VALU_DEP_2)
	v_cndmask_b32_e32 v33, 7, v33, vcc_lo
	v_cmp_lt_u32_e32 vcc_lo, 0x3c500000, v32
	s_wait_alu depctr_va_vcc(0)
	v_cndmask_b32_e32 v33, 6, v33, vcc_lo
	v_cmp_lt_u32_e32 vcc_lo, 0x3c2fffff, v32
	s_wait_alu depctr_va_vcc(0)
	s_delay_alu instid0(VALU_DEP_2) | instskip(SKIP_2) | instid1(VALU_DEP_2)
	v_cndmask_b32_e32 v33, 5, v33, vcc_lo
	v_cmp_lt_u32_e32 vcc_lo, 0x3c100000, v32
	;; [unrolled: 7-line block ×4, first 2 shown]
	s_wait_alu depctr_va_vcc(0)
	v_cndmask_b32_e32 v32, 0, v33, vcc_lo
	v_cmp_o_f32_e32 vcc_lo, v10, v10
	s_wait_alu depctr_va_vcc(0)
	s_delay_alu instid0(VALU_DEP_2) | instskip(SKIP_3) | instid1(VALU_DEP_3)
	v_cndmask_b32_e32 v35, 0x7f, v32, vcc_lo
	.loc	1 68 56                         ; persistent_matmul.py:68:56
	v_add_co_u32 v32, vcc_lo, v117, v36
	s_wait_alu depctr_va_vcc(0)
	v_add_co_ci_u32_e64 v33, null, v118, v37, vcc_lo
	.loc	1 71 31                         ; persistent_matmul.py:71:31
	v_or_b32_e32 v34, v35, v34
	.loc	1 74 25                         ; persistent_matmul.py:74:25
	global_store_b8 v[32:33], v34, off
	s_wait_alu depctr_sa_sdst(0)
	s_or_b32 exec_lo, exec_lo, s0
	.loc	1 69 43                         ; persistent_matmul.py:69:43
	s_and_b32 s1, s10, s2
	.loc	1 74 25                         ; persistent_matmul.py:74:25
	s_wait_alu depctr_sa_sdst(0)
	s_and_saveexec_b32 s0, s1
	s_cbranch_execz .LBB0_157
.LBB0_187:                              ;   in Loop: Header=BB0_69 Depth=1
	.loc	1 71 31                         ; persistent_matmul.py:71:31
	v_and_b32_e32 v32, 0x7fffffff, v11
	v_lshrrev_b32_e32 v34, 24, v11
	s_delay_alu instid0(VALU_DEP_2) | instskip(SKIP_1) | instid1(VALU_DEP_3)
	v_bfe_u32 v33, v32, 20, 1
	v_cmp_gt_u32_e32 vcc_lo, 0x43e80000, v32
	v_and_b32_e32 v34, 0x80, v34
	s_delay_alu instid0(VALU_DEP_3) | instskip(NEXT) | instid1(VALU_DEP_1)
	v_add3_u32 v33, v32, v33, 0x7ffff
	v_and_b32_e32 v33, 0xfff00000, v33
	s_delay_alu instid0(VALU_DEP_1) | instskip(NEXT) | instid1(VALU_DEP_1)
	v_max_u32_e32 v33, 0x3c800000, v33
	v_add_nc_u32_e32 v33, 0x4000000, v33
	s_delay_alu instid0(VALU_DEP_1) | instskip(SKIP_1) | instid1(VALU_DEP_1)
	v_lshrrev_b32_e32 v33, 20, v33
	s_wait_alu depctr_va_vcc(0)
	v_cndmask_b32_e32 v33, 0x7e, v33, vcc_lo
	v_cmp_lt_u32_e32 vcc_lo, 0x3c6fffff, v32
	s_wait_alu depctr_va_vcc(0)
	s_delay_alu instid0(VALU_DEP_2) | instskip(SKIP_2) | instid1(VALU_DEP_2)
	v_cndmask_b32_e32 v33, 7, v33, vcc_lo
	v_cmp_lt_u32_e32 vcc_lo, 0x3c500000, v32
	s_wait_alu depctr_va_vcc(0)
	v_cndmask_b32_e32 v33, 6, v33, vcc_lo
	v_cmp_lt_u32_e32 vcc_lo, 0x3c2fffff, v32
	s_wait_alu depctr_va_vcc(0)
	s_delay_alu instid0(VALU_DEP_2) | instskip(SKIP_2) | instid1(VALU_DEP_2)
	v_cndmask_b32_e32 v33, 5, v33, vcc_lo
	v_cmp_lt_u32_e32 vcc_lo, 0x3c100000, v32
	;; [unrolled: 7-line block ×4, first 2 shown]
	s_wait_alu depctr_va_vcc(0)
	v_cndmask_b32_e32 v32, 0, v33, vcc_lo
	v_cmp_o_f32_e32 vcc_lo, v11, v11
	s_wait_alu depctr_va_vcc(0)
	s_delay_alu instid0(VALU_DEP_2) | instskip(SKIP_3) | instid1(VALU_DEP_3)
	v_cndmask_b32_e32 v35, 0x7f, v32, vcc_lo
	.loc	1 68 56                         ; persistent_matmul.py:68:56
	v_add_co_u32 v32, vcc_lo, v117, v38
	s_wait_alu depctr_va_vcc(0)
	v_add_co_ci_u32_e64 v33, null, v118, v39, vcc_lo
	.loc	1 71 31                         ; persistent_matmul.py:71:31
	v_or_b32_e32 v34, v35, v34
	.loc	1 74 25                         ; persistent_matmul.py:74:25
	global_store_b8 v[32:33], v34, off
	s_wait_alu depctr_sa_sdst(0)
	s_or_b32 exec_lo, exec_lo, s0
	.loc	1 69 43                         ; persistent_matmul.py:69:43
	s_and_b32 s1, s10, s3
	.loc	1 74 25                         ; persistent_matmul.py:74:25
	s_wait_alu depctr_sa_sdst(0)
	s_and_saveexec_b32 s0, s1
	s_cbranch_execz .LBB0_158
.LBB0_188:                              ;   in Loop: Header=BB0_69 Depth=1
	.loc	1 71 31                         ; persistent_matmul.py:71:31
	v_and_b32_e32 v32, 0x7fffffff, v12
	v_lshrrev_b32_e32 v34, 24, v12
	s_delay_alu instid0(VALU_DEP_2) | instskip(SKIP_1) | instid1(VALU_DEP_3)
	v_bfe_u32 v33, v32, 20, 1
	v_cmp_gt_u32_e32 vcc_lo, 0x43e80000, v32
	v_and_b32_e32 v34, 0x80, v34
	s_delay_alu instid0(VALU_DEP_3) | instskip(NEXT) | instid1(VALU_DEP_1)
	v_add3_u32 v33, v32, v33, 0x7ffff
	v_and_b32_e32 v33, 0xfff00000, v33
	s_delay_alu instid0(VALU_DEP_1) | instskip(NEXT) | instid1(VALU_DEP_1)
	v_max_u32_e32 v33, 0x3c800000, v33
	v_add_nc_u32_e32 v33, 0x4000000, v33
	s_delay_alu instid0(VALU_DEP_1) | instskip(SKIP_1) | instid1(VALU_DEP_1)
	v_lshrrev_b32_e32 v33, 20, v33
	s_wait_alu depctr_va_vcc(0)
	v_cndmask_b32_e32 v33, 0x7e, v33, vcc_lo
	v_cmp_lt_u32_e32 vcc_lo, 0x3c6fffff, v32
	s_wait_alu depctr_va_vcc(0)
	s_delay_alu instid0(VALU_DEP_2) | instskip(SKIP_2) | instid1(VALU_DEP_2)
	v_cndmask_b32_e32 v33, 7, v33, vcc_lo
	v_cmp_lt_u32_e32 vcc_lo, 0x3c500000, v32
	s_wait_alu depctr_va_vcc(0)
	v_cndmask_b32_e32 v33, 6, v33, vcc_lo
	v_cmp_lt_u32_e32 vcc_lo, 0x3c2fffff, v32
	s_wait_alu depctr_va_vcc(0)
	s_delay_alu instid0(VALU_DEP_2) | instskip(SKIP_2) | instid1(VALU_DEP_2)
	v_cndmask_b32_e32 v33, 5, v33, vcc_lo
	v_cmp_lt_u32_e32 vcc_lo, 0x3c100000, v32
	;; [unrolled: 7-line block ×4, first 2 shown]
	s_wait_alu depctr_va_vcc(0)
	v_cndmask_b32_e32 v32, 0, v33, vcc_lo
	v_cmp_o_f32_e32 vcc_lo, v12, v12
	s_wait_alu depctr_va_vcc(0)
	s_delay_alu instid0(VALU_DEP_2) | instskip(SKIP_3) | instid1(VALU_DEP_3)
	v_cndmask_b32_e32 v35, 0x7f, v32, vcc_lo
	.loc	1 68 56                         ; persistent_matmul.py:68:56
	v_add_co_u32 v32, vcc_lo, v117, v40
	s_wait_alu depctr_va_vcc(0)
	v_add_co_ci_u32_e64 v33, null, v118, v41, vcc_lo
	.loc	1 71 31                         ; persistent_matmul.py:71:31
	v_or_b32_e32 v34, v35, v34
	.loc	1 74 25                         ; persistent_matmul.py:74:25
	global_store_b8 v[32:33], v34, off
	s_wait_alu depctr_sa_sdst(0)
	s_or_b32 exec_lo, exec_lo, s0
	.loc	1 69 43                         ; persistent_matmul.py:69:43
	s_and_b32 s1, s10, s4
	.loc	1 74 25                         ; persistent_matmul.py:74:25
	s_wait_alu depctr_sa_sdst(0)
	s_and_saveexec_b32 s0, s1
	s_cbranch_execz .LBB0_159
.LBB0_189:                              ;   in Loop: Header=BB0_69 Depth=1
	.loc	1 71 31                         ; persistent_matmul.py:71:31
	v_and_b32_e32 v32, 0x7fffffff, v13
	v_lshrrev_b32_e32 v34, 24, v13
	s_delay_alu instid0(VALU_DEP_2) | instskip(SKIP_1) | instid1(VALU_DEP_3)
	v_bfe_u32 v33, v32, 20, 1
	v_cmp_gt_u32_e32 vcc_lo, 0x43e80000, v32
	v_and_b32_e32 v34, 0x80, v34
	s_delay_alu instid0(VALU_DEP_3) | instskip(NEXT) | instid1(VALU_DEP_1)
	v_add3_u32 v33, v32, v33, 0x7ffff
	v_and_b32_e32 v33, 0xfff00000, v33
	s_delay_alu instid0(VALU_DEP_1) | instskip(NEXT) | instid1(VALU_DEP_1)
	v_max_u32_e32 v33, 0x3c800000, v33
	v_add_nc_u32_e32 v33, 0x4000000, v33
	s_delay_alu instid0(VALU_DEP_1) | instskip(SKIP_1) | instid1(VALU_DEP_1)
	v_lshrrev_b32_e32 v33, 20, v33
	s_wait_alu depctr_va_vcc(0)
	v_cndmask_b32_e32 v33, 0x7e, v33, vcc_lo
	v_cmp_lt_u32_e32 vcc_lo, 0x3c6fffff, v32
	s_wait_alu depctr_va_vcc(0)
	s_delay_alu instid0(VALU_DEP_2) | instskip(SKIP_2) | instid1(VALU_DEP_2)
	v_cndmask_b32_e32 v33, 7, v33, vcc_lo
	v_cmp_lt_u32_e32 vcc_lo, 0x3c500000, v32
	s_wait_alu depctr_va_vcc(0)
	v_cndmask_b32_e32 v33, 6, v33, vcc_lo
	v_cmp_lt_u32_e32 vcc_lo, 0x3c2fffff, v32
	s_wait_alu depctr_va_vcc(0)
	s_delay_alu instid0(VALU_DEP_2) | instskip(SKIP_2) | instid1(VALU_DEP_2)
	v_cndmask_b32_e32 v33, 5, v33, vcc_lo
	v_cmp_lt_u32_e32 vcc_lo, 0x3c100000, v32
	;; [unrolled: 7-line block ×4, first 2 shown]
	s_wait_alu depctr_va_vcc(0)
	v_cndmask_b32_e32 v32, 0, v33, vcc_lo
	v_cmp_o_f32_e32 vcc_lo, v13, v13
	s_wait_alu depctr_va_vcc(0)
	s_delay_alu instid0(VALU_DEP_2) | instskip(SKIP_3) | instid1(VALU_DEP_3)
	v_cndmask_b32_e32 v35, 0x7f, v32, vcc_lo
	.loc	1 68 56                         ; persistent_matmul.py:68:56
	v_add_co_u32 v32, vcc_lo, v117, v42
	s_wait_alu depctr_va_vcc(0)
	v_add_co_ci_u32_e64 v33, null, v118, v43, vcc_lo
	.loc	1 71 31                         ; persistent_matmul.py:71:31
	v_or_b32_e32 v34, v35, v34
	.loc	1 74 25                         ; persistent_matmul.py:74:25
	global_store_b8 v[32:33], v34, off
	s_wait_alu depctr_sa_sdst(0)
	s_or_b32 exec_lo, exec_lo, s0
	.loc	1 69 43                         ; persistent_matmul.py:69:43
	s_and_b32 s1, s10, s5
	.loc	1 74 25                         ; persistent_matmul.py:74:25
	s_wait_alu depctr_sa_sdst(0)
	s_and_saveexec_b32 s0, s1
	s_cbranch_execz .LBB0_160
.LBB0_190:                              ;   in Loop: Header=BB0_69 Depth=1
	.loc	1 71 31                         ; persistent_matmul.py:71:31
	v_and_b32_e32 v32, 0x7fffffff, v14
	v_lshrrev_b32_e32 v34, 24, v14
	s_delay_alu instid0(VALU_DEP_2) | instskip(SKIP_1) | instid1(VALU_DEP_3)
	v_bfe_u32 v33, v32, 20, 1
	v_cmp_gt_u32_e32 vcc_lo, 0x43e80000, v32
	v_and_b32_e32 v34, 0x80, v34
	s_delay_alu instid0(VALU_DEP_3) | instskip(NEXT) | instid1(VALU_DEP_1)
	v_add3_u32 v33, v32, v33, 0x7ffff
	v_and_b32_e32 v33, 0xfff00000, v33
	s_delay_alu instid0(VALU_DEP_1) | instskip(NEXT) | instid1(VALU_DEP_1)
	v_max_u32_e32 v33, 0x3c800000, v33
	v_add_nc_u32_e32 v33, 0x4000000, v33
	s_delay_alu instid0(VALU_DEP_1) | instskip(SKIP_1) | instid1(VALU_DEP_1)
	v_lshrrev_b32_e32 v33, 20, v33
	s_wait_alu depctr_va_vcc(0)
	v_cndmask_b32_e32 v33, 0x7e, v33, vcc_lo
	v_cmp_lt_u32_e32 vcc_lo, 0x3c6fffff, v32
	s_wait_alu depctr_va_vcc(0)
	s_delay_alu instid0(VALU_DEP_2) | instskip(SKIP_2) | instid1(VALU_DEP_2)
	v_cndmask_b32_e32 v33, 7, v33, vcc_lo
	v_cmp_lt_u32_e32 vcc_lo, 0x3c500000, v32
	s_wait_alu depctr_va_vcc(0)
	v_cndmask_b32_e32 v33, 6, v33, vcc_lo
	v_cmp_lt_u32_e32 vcc_lo, 0x3c2fffff, v32
	s_wait_alu depctr_va_vcc(0)
	s_delay_alu instid0(VALU_DEP_2) | instskip(SKIP_2) | instid1(VALU_DEP_2)
	v_cndmask_b32_e32 v33, 5, v33, vcc_lo
	v_cmp_lt_u32_e32 vcc_lo, 0x3c100000, v32
	;; [unrolled: 7-line block ×4, first 2 shown]
	s_wait_alu depctr_va_vcc(0)
	v_cndmask_b32_e32 v32, 0, v33, vcc_lo
	v_cmp_o_f32_e32 vcc_lo, v14, v14
	s_wait_alu depctr_va_vcc(0)
	s_delay_alu instid0(VALU_DEP_2) | instskip(SKIP_3) | instid1(VALU_DEP_3)
	v_cndmask_b32_e32 v35, 0x7f, v32, vcc_lo
	.loc	1 68 56                         ; persistent_matmul.py:68:56
	v_add_co_u32 v32, vcc_lo, v117, v44
	s_wait_alu depctr_va_vcc(0)
	v_add_co_ci_u32_e64 v33, null, v118, v45, vcc_lo
	.loc	1 71 31                         ; persistent_matmul.py:71:31
	v_or_b32_e32 v34, v35, v34
	.loc	1 74 25                         ; persistent_matmul.py:74:25
	global_store_b8 v[32:33], v34, off
	s_wait_alu depctr_sa_sdst(0)
	s_or_b32 exec_lo, exec_lo, s0
	.loc	1 69 43                         ; persistent_matmul.py:69:43
	s_and_b32 s1, s10, s6
	.loc	1 74 25                         ; persistent_matmul.py:74:25
	s_wait_alu depctr_sa_sdst(0)
	s_and_saveexec_b32 s0, s1
	s_cbranch_execz .LBB0_161
.LBB0_191:                              ;   in Loop: Header=BB0_69 Depth=1
	.loc	1 71 31                         ; persistent_matmul.py:71:31
	v_and_b32_e32 v32, 0x7fffffff, v15
	v_lshrrev_b32_e32 v34, 24, v15
	s_delay_alu instid0(VALU_DEP_2) | instskip(SKIP_1) | instid1(VALU_DEP_3)
	v_bfe_u32 v33, v32, 20, 1
	v_cmp_gt_u32_e32 vcc_lo, 0x43e80000, v32
	v_and_b32_e32 v34, 0x80, v34
	s_delay_alu instid0(VALU_DEP_3) | instskip(NEXT) | instid1(VALU_DEP_1)
	v_add3_u32 v33, v32, v33, 0x7ffff
	v_and_b32_e32 v33, 0xfff00000, v33
	s_delay_alu instid0(VALU_DEP_1) | instskip(NEXT) | instid1(VALU_DEP_1)
	v_max_u32_e32 v33, 0x3c800000, v33
	v_add_nc_u32_e32 v33, 0x4000000, v33
	s_delay_alu instid0(VALU_DEP_1) | instskip(SKIP_1) | instid1(VALU_DEP_1)
	v_lshrrev_b32_e32 v33, 20, v33
	s_wait_alu depctr_va_vcc(0)
	v_cndmask_b32_e32 v33, 0x7e, v33, vcc_lo
	v_cmp_lt_u32_e32 vcc_lo, 0x3c6fffff, v32
	s_wait_alu depctr_va_vcc(0)
	s_delay_alu instid0(VALU_DEP_2) | instskip(SKIP_2) | instid1(VALU_DEP_2)
	v_cndmask_b32_e32 v33, 7, v33, vcc_lo
	v_cmp_lt_u32_e32 vcc_lo, 0x3c500000, v32
	s_wait_alu depctr_va_vcc(0)
	v_cndmask_b32_e32 v33, 6, v33, vcc_lo
	v_cmp_lt_u32_e32 vcc_lo, 0x3c2fffff, v32
	s_wait_alu depctr_va_vcc(0)
	s_delay_alu instid0(VALU_DEP_2) | instskip(SKIP_2) | instid1(VALU_DEP_2)
	v_cndmask_b32_e32 v33, 5, v33, vcc_lo
	v_cmp_lt_u32_e32 vcc_lo, 0x3c100000, v32
	;; [unrolled: 7-line block ×4, first 2 shown]
	s_wait_alu depctr_va_vcc(0)
	v_cndmask_b32_e32 v32, 0, v33, vcc_lo
	v_cmp_o_f32_e32 vcc_lo, v15, v15
	s_wait_alu depctr_va_vcc(0)
	s_delay_alu instid0(VALU_DEP_2) | instskip(SKIP_3) | instid1(VALU_DEP_3)
	v_cndmask_b32_e32 v35, 0x7f, v32, vcc_lo
	.loc	1 68 56                         ; persistent_matmul.py:68:56
	v_add_co_u32 v32, vcc_lo, v117, v46
	s_wait_alu depctr_va_vcc(0)
	v_add_co_ci_u32_e64 v33, null, v118, v47, vcc_lo
	.loc	1 71 31                         ; persistent_matmul.py:71:31
	v_or_b32_e32 v34, v35, v34
	.loc	1 74 25                         ; persistent_matmul.py:74:25
	global_store_b8 v[32:33], v34, off
	s_wait_alu depctr_sa_sdst(0)
	s_or_b32 exec_lo, exec_lo, s0
	.loc	1 69 43                         ; persistent_matmul.py:69:43
	s_and_b32 s1, s10, s7
	.loc	1 74 25                         ; persistent_matmul.py:74:25
	s_wait_alu depctr_sa_sdst(0)
	s_and_saveexec_b32 s0, s1
	s_cbranch_execz .LBB0_162
.LBB0_192:                              ;   in Loop: Header=BB0_69 Depth=1
	.loc	1 71 31                         ; persistent_matmul.py:71:31
	v_and_b32_e32 v32, 0x7fffffff, v0
	v_lshrrev_b32_e32 v34, 24, v0
	s_delay_alu instid0(VALU_DEP_2) | instskip(SKIP_1) | instid1(VALU_DEP_3)
	v_bfe_u32 v33, v32, 20, 1
	v_cmp_gt_u32_e32 vcc_lo, 0x43e80000, v32
	v_and_b32_e32 v34, 0x80, v34
	s_delay_alu instid0(VALU_DEP_3) | instskip(NEXT) | instid1(VALU_DEP_1)
	v_add3_u32 v33, v32, v33, 0x7ffff
	v_and_b32_e32 v33, 0xfff00000, v33
	s_delay_alu instid0(VALU_DEP_1) | instskip(NEXT) | instid1(VALU_DEP_1)
	v_max_u32_e32 v33, 0x3c800000, v33
	v_add_nc_u32_e32 v33, 0x4000000, v33
	s_delay_alu instid0(VALU_DEP_1) | instskip(SKIP_1) | instid1(VALU_DEP_1)
	v_lshrrev_b32_e32 v33, 20, v33
	s_wait_alu depctr_va_vcc(0)
	v_cndmask_b32_e32 v33, 0x7e, v33, vcc_lo
	v_cmp_lt_u32_e32 vcc_lo, 0x3c6fffff, v32
	s_wait_alu depctr_va_vcc(0)
	s_delay_alu instid0(VALU_DEP_2) | instskip(SKIP_2) | instid1(VALU_DEP_2)
	v_cndmask_b32_e32 v33, 7, v33, vcc_lo
	v_cmp_lt_u32_e32 vcc_lo, 0x3c500000, v32
	s_wait_alu depctr_va_vcc(0)
	v_cndmask_b32_e32 v33, 6, v33, vcc_lo
	v_cmp_lt_u32_e32 vcc_lo, 0x3c2fffff, v32
	s_wait_alu depctr_va_vcc(0)
	s_delay_alu instid0(VALU_DEP_2) | instskip(SKIP_2) | instid1(VALU_DEP_2)
	v_cndmask_b32_e32 v33, 5, v33, vcc_lo
	v_cmp_lt_u32_e32 vcc_lo, 0x3c100000, v32
	;; [unrolled: 7-line block ×4, first 2 shown]
	s_wait_alu depctr_va_vcc(0)
	v_cndmask_b32_e32 v32, 0, v33, vcc_lo
	v_cmp_o_f32_e32 vcc_lo, v0, v0
	s_wait_alu depctr_va_vcc(0)
	s_delay_alu instid0(VALU_DEP_2) | instskip(SKIP_3) | instid1(VALU_DEP_3)
	v_cndmask_b32_e32 v35, 0x7f, v32, vcc_lo
	.loc	1 68 56                         ; persistent_matmul.py:68:56
	v_add_co_u32 v32, vcc_lo, v117, v110
	s_wait_alu depctr_va_vcc(0)
	v_add_co_ci_u32_e64 v33, null, v118, v111, vcc_lo
	.loc	1 71 31                         ; persistent_matmul.py:71:31
	v_or_b32_e32 v34, v35, v34
	.loc	1 74 25                         ; persistent_matmul.py:74:25
	global_store_b8 v[32:33], v34, off
	s_wait_alu depctr_sa_sdst(0)
	s_or_b32 exec_lo, exec_lo, s0
	.loc	1 69 43                         ; persistent_matmul.py:69:43
	s_and_b32 s1, s10, s8
	.loc	1 74 25                         ; persistent_matmul.py:74:25
	s_wait_alu depctr_sa_sdst(0)
	s_and_saveexec_b32 s0, s1
	s_cbranch_execz .LBB0_163
.LBB0_193:                              ;   in Loop: Header=BB0_69 Depth=1
	.loc	1 71 31                         ; persistent_matmul.py:71:31
	v_and_b32_e32 v32, 0x7fffffff, v1
	v_lshrrev_b32_e32 v34, 24, v1
	s_delay_alu instid0(VALU_DEP_2) | instskip(SKIP_1) | instid1(VALU_DEP_3)
	v_bfe_u32 v33, v32, 20, 1
	v_cmp_gt_u32_e32 vcc_lo, 0x43e80000, v32
	v_and_b32_e32 v34, 0x80, v34
	s_delay_alu instid0(VALU_DEP_3) | instskip(NEXT) | instid1(VALU_DEP_1)
	v_add3_u32 v33, v32, v33, 0x7ffff
	v_and_b32_e32 v33, 0xfff00000, v33
	s_delay_alu instid0(VALU_DEP_1) | instskip(NEXT) | instid1(VALU_DEP_1)
	v_max_u32_e32 v33, 0x3c800000, v33
	v_add_nc_u32_e32 v33, 0x4000000, v33
	s_delay_alu instid0(VALU_DEP_1) | instskip(SKIP_1) | instid1(VALU_DEP_1)
	v_lshrrev_b32_e32 v33, 20, v33
	s_wait_alu depctr_va_vcc(0)
	v_cndmask_b32_e32 v33, 0x7e, v33, vcc_lo
	v_cmp_lt_u32_e32 vcc_lo, 0x3c6fffff, v32
	s_wait_alu depctr_va_vcc(0)
	s_delay_alu instid0(VALU_DEP_2) | instskip(SKIP_2) | instid1(VALU_DEP_2)
	v_cndmask_b32_e32 v33, 7, v33, vcc_lo
	v_cmp_lt_u32_e32 vcc_lo, 0x3c500000, v32
	s_wait_alu depctr_va_vcc(0)
	v_cndmask_b32_e32 v33, 6, v33, vcc_lo
	v_cmp_lt_u32_e32 vcc_lo, 0x3c2fffff, v32
	s_wait_alu depctr_va_vcc(0)
	s_delay_alu instid0(VALU_DEP_2) | instskip(SKIP_2) | instid1(VALU_DEP_2)
	v_cndmask_b32_e32 v33, 5, v33, vcc_lo
	v_cmp_lt_u32_e32 vcc_lo, 0x3c100000, v32
	s_wait_alu depctr_va_vcc(0)
	v_cndmask_b32_e32 v33, 4, v33, vcc_lo
	v_cmp_lt_u32_e32 vcc_lo, 0x3bdfffff, v32
	s_wait_alu depctr_va_vcc(0)
	s_delay_alu instid0(VALU_DEP_2) | instskip(SKIP_2) | instid1(VALU_DEP_2)
	v_cndmask_b32_e32 v33, 3, v33, vcc_lo
	v_cmp_lt_u32_e32 vcc_lo, 0x3ba00000, v32
	s_wait_alu depctr_va_vcc(0)
	v_cndmask_b32_e32 v33, 2, v33, vcc_lo
	v_cmp_lt_u32_e32 vcc_lo, 0x3b3fffff, v32
	s_wait_alu depctr_va_vcc(0)
	s_delay_alu instid0(VALU_DEP_2) | instskip(SKIP_2) | instid1(VALU_DEP_2)
	v_cndmask_b32_e32 v33, 1, v33, vcc_lo
	v_cmp_lt_u32_e32 vcc_lo, 0x3a800000, v32
	s_wait_alu depctr_va_vcc(0)
	v_cndmask_b32_e32 v32, 0, v33, vcc_lo
	v_cmp_o_f32_e32 vcc_lo, v1, v1
	s_wait_alu depctr_va_vcc(0)
	s_delay_alu instid0(VALU_DEP_2) | instskip(SKIP_3) | instid1(VALU_DEP_3)
	v_cndmask_b32_e32 v35, 0x7f, v32, vcc_lo
	.loc	1 68 56                         ; persistent_matmul.py:68:56
	v_add_co_u32 v32, vcc_lo, v117, v112
	s_wait_alu depctr_va_vcc(0)
	v_add_co_ci_u32_e64 v33, null, v118, v113, vcc_lo
	.loc	1 71 31                         ; persistent_matmul.py:71:31
	v_or_b32_e32 v34, v35, v34
	.loc	1 74 25                         ; persistent_matmul.py:74:25
	global_store_b8 v[32:33], v34, off
	s_wait_alu depctr_sa_sdst(0)
	s_or_b32 exec_lo, exec_lo, s0
	.loc	1 69 43                         ; persistent_matmul.py:69:43
	s_and_b32 s1, s10, s9
	.loc	1 74 25                         ; persistent_matmul.py:74:25
	s_wait_alu depctr_sa_sdst(0)
	s_and_saveexec_b32 s0, s1
	s_cbranch_execz .LBB0_164
.LBB0_194:                              ;   in Loop: Header=BB0_69 Depth=1
	.loc	1 71 31                         ; persistent_matmul.py:71:31
	v_and_b32_e32 v32, 0x7fffffff, v2
	v_lshrrev_b32_e32 v34, 24, v2
	s_delay_alu instid0(VALU_DEP_2) | instskip(SKIP_1) | instid1(VALU_DEP_3)
	v_bfe_u32 v33, v32, 20, 1
	v_cmp_gt_u32_e32 vcc_lo, 0x43e80000, v32
	v_and_b32_e32 v34, 0x80, v34
	s_delay_alu instid0(VALU_DEP_3) | instskip(NEXT) | instid1(VALU_DEP_1)
	v_add3_u32 v33, v32, v33, 0x7ffff
	v_and_b32_e32 v33, 0xfff00000, v33
	s_delay_alu instid0(VALU_DEP_1) | instskip(NEXT) | instid1(VALU_DEP_1)
	v_max_u32_e32 v33, 0x3c800000, v33
	v_add_nc_u32_e32 v33, 0x4000000, v33
	s_delay_alu instid0(VALU_DEP_1) | instskip(SKIP_1) | instid1(VALU_DEP_1)
	v_lshrrev_b32_e32 v33, 20, v33
	s_wait_alu depctr_va_vcc(0)
	v_cndmask_b32_e32 v33, 0x7e, v33, vcc_lo
	v_cmp_lt_u32_e32 vcc_lo, 0x3c6fffff, v32
	s_wait_alu depctr_va_vcc(0)
	s_delay_alu instid0(VALU_DEP_2) | instskip(SKIP_2) | instid1(VALU_DEP_2)
	v_cndmask_b32_e32 v33, 7, v33, vcc_lo
	v_cmp_lt_u32_e32 vcc_lo, 0x3c500000, v32
	s_wait_alu depctr_va_vcc(0)
	v_cndmask_b32_e32 v33, 6, v33, vcc_lo
	v_cmp_lt_u32_e32 vcc_lo, 0x3c2fffff, v32
	s_wait_alu depctr_va_vcc(0)
	s_delay_alu instid0(VALU_DEP_2) | instskip(SKIP_2) | instid1(VALU_DEP_2)
	v_cndmask_b32_e32 v33, 5, v33, vcc_lo
	v_cmp_lt_u32_e32 vcc_lo, 0x3c100000, v32
	;; [unrolled: 7-line block ×4, first 2 shown]
	s_wait_alu depctr_va_vcc(0)
	v_cndmask_b32_e32 v32, 0, v33, vcc_lo
	v_cmp_o_f32_e32 vcc_lo, v2, v2
	s_wait_alu depctr_va_vcc(0)
	s_delay_alu instid0(VALU_DEP_2) | instskip(SKIP_3) | instid1(VALU_DEP_3)
	v_cndmask_b32_e32 v35, 0x7f, v32, vcc_lo
	.loc	1 68 56                         ; persistent_matmul.py:68:56
	v_add_co_u32 v32, vcc_lo, v117, v114
	s_wait_alu depctr_va_vcc(0)
	v_add_co_ci_u32_e64 v33, null, v118, v115, vcc_lo
	.loc	1 71 31                         ; persistent_matmul.py:71:31
	v_or_b32_e32 v34, v35, v34
	.loc	1 74 25                         ; persistent_matmul.py:74:25
	global_store_b8 v[32:33], v34, off
	s_wait_alu depctr_sa_sdst(0)
	s_or_b32 exec_lo, exec_lo, s0
	.loc	1 69 43                         ; persistent_matmul.py:69:43
	s_and_b32 s1, s10, s11
	.loc	1 74 25                         ; persistent_matmul.py:74:25
	s_wait_alu depctr_sa_sdst(0)
	s_and_saveexec_b32 s0, s1
	s_cbranch_execz .LBB0_165
.LBB0_195:                              ;   in Loop: Header=BB0_69 Depth=1
	.loc	1 71 31                         ; persistent_matmul.py:71:31
	v_and_b32_e32 v32, 0x7fffffff, v3
	v_lshrrev_b32_e32 v34, 24, v3
	s_delay_alu instid0(VALU_DEP_2) | instskip(SKIP_1) | instid1(VALU_DEP_3)
	v_bfe_u32 v33, v32, 20, 1
	v_cmp_gt_u32_e32 vcc_lo, 0x43e80000, v32
	v_and_b32_e32 v34, 0x80, v34
	s_delay_alu instid0(VALU_DEP_3) | instskip(NEXT) | instid1(VALU_DEP_1)
	v_add3_u32 v33, v32, v33, 0x7ffff
	v_and_b32_e32 v33, 0xfff00000, v33
	s_delay_alu instid0(VALU_DEP_1) | instskip(NEXT) | instid1(VALU_DEP_1)
	v_max_u32_e32 v33, 0x3c800000, v33
	v_add_nc_u32_e32 v33, 0x4000000, v33
	s_delay_alu instid0(VALU_DEP_1) | instskip(SKIP_1) | instid1(VALU_DEP_1)
	v_lshrrev_b32_e32 v33, 20, v33
	s_wait_alu depctr_va_vcc(0)
	v_cndmask_b32_e32 v33, 0x7e, v33, vcc_lo
	v_cmp_lt_u32_e32 vcc_lo, 0x3c6fffff, v32
	s_wait_alu depctr_va_vcc(0)
	s_delay_alu instid0(VALU_DEP_2) | instskip(SKIP_2) | instid1(VALU_DEP_2)
	v_cndmask_b32_e32 v33, 7, v33, vcc_lo
	v_cmp_lt_u32_e32 vcc_lo, 0x3c500000, v32
	s_wait_alu depctr_va_vcc(0)
	v_cndmask_b32_e32 v33, 6, v33, vcc_lo
	v_cmp_lt_u32_e32 vcc_lo, 0x3c2fffff, v32
	s_wait_alu depctr_va_vcc(0)
	s_delay_alu instid0(VALU_DEP_2) | instskip(SKIP_2) | instid1(VALU_DEP_2)
	v_cndmask_b32_e32 v33, 5, v33, vcc_lo
	v_cmp_lt_u32_e32 vcc_lo, 0x3c100000, v32
	;; [unrolled: 7-line block ×4, first 2 shown]
	s_wait_alu depctr_va_vcc(0)
	v_cndmask_b32_e32 v32, 0, v33, vcc_lo
	v_cmp_o_f32_e32 vcc_lo, v3, v3
	s_wait_alu depctr_va_vcc(0)
	s_delay_alu instid0(VALU_DEP_2) | instskip(SKIP_3) | instid1(VALU_DEP_3)
	v_cndmask_b32_e32 v35, 0x7f, v32, vcc_lo
	.loc	1 68 56                         ; persistent_matmul.py:68:56
	v_add_co_u32 v32, vcc_lo, v117, v116
	s_wait_alu depctr_va_vcc(0)
	v_add_co_ci_u32_e64 v33, null, v118, v119, vcc_lo
	.loc	1 71 31                         ; persistent_matmul.py:71:31
	v_or_b32_e32 v34, v35, v34
	.loc	1 74 25                         ; persistent_matmul.py:74:25
	global_store_b8 v[32:33], v34, off
	s_wait_alu depctr_sa_sdst(0)
	s_or_b32 exec_lo, exec_lo, s0
	.loc	1 69 43                         ; persistent_matmul.py:69:43
	s_and_b32 s1, s10, s12
	.loc	1 74 25                         ; persistent_matmul.py:74:25
	s_wait_alu depctr_sa_sdst(0)
	s_and_saveexec_b32 s0, s1
	s_cbranch_execz .LBB0_166
.LBB0_196:                              ;   in Loop: Header=BB0_69 Depth=1
	.loc	1 71 31                         ; persistent_matmul.py:71:31
	v_and_b32_e32 v32, 0x7fffffff, v4
	v_lshrrev_b32_e32 v34, 24, v4
	s_delay_alu instid0(VALU_DEP_2) | instskip(SKIP_1) | instid1(VALU_DEP_3)
	v_bfe_u32 v33, v32, 20, 1
	v_cmp_gt_u32_e32 vcc_lo, 0x43e80000, v32
	v_and_b32_e32 v34, 0x80, v34
	s_delay_alu instid0(VALU_DEP_3) | instskip(NEXT) | instid1(VALU_DEP_1)
	v_add3_u32 v33, v32, v33, 0x7ffff
	v_and_b32_e32 v33, 0xfff00000, v33
	s_delay_alu instid0(VALU_DEP_1) | instskip(NEXT) | instid1(VALU_DEP_1)
	v_max_u32_e32 v33, 0x3c800000, v33
	v_add_nc_u32_e32 v33, 0x4000000, v33
	s_delay_alu instid0(VALU_DEP_1) | instskip(SKIP_1) | instid1(VALU_DEP_1)
	v_lshrrev_b32_e32 v33, 20, v33
	s_wait_alu depctr_va_vcc(0)
	v_cndmask_b32_e32 v33, 0x7e, v33, vcc_lo
	v_cmp_lt_u32_e32 vcc_lo, 0x3c6fffff, v32
	s_wait_alu depctr_va_vcc(0)
	s_delay_alu instid0(VALU_DEP_2) | instskip(SKIP_2) | instid1(VALU_DEP_2)
	v_cndmask_b32_e32 v33, 7, v33, vcc_lo
	v_cmp_lt_u32_e32 vcc_lo, 0x3c500000, v32
	s_wait_alu depctr_va_vcc(0)
	v_cndmask_b32_e32 v33, 6, v33, vcc_lo
	v_cmp_lt_u32_e32 vcc_lo, 0x3c2fffff, v32
	s_wait_alu depctr_va_vcc(0)
	s_delay_alu instid0(VALU_DEP_2) | instskip(SKIP_2) | instid1(VALU_DEP_2)
	v_cndmask_b32_e32 v33, 5, v33, vcc_lo
	v_cmp_lt_u32_e32 vcc_lo, 0x3c100000, v32
	;; [unrolled: 7-line block ×4, first 2 shown]
	s_wait_alu depctr_va_vcc(0)
	v_cndmask_b32_e32 v32, 0, v33, vcc_lo
	v_cmp_o_f32_e32 vcc_lo, v4, v4
	s_wait_alu depctr_va_vcc(0)
	s_delay_alu instid0(VALU_DEP_2) | instskip(SKIP_3) | instid1(VALU_DEP_3)
	v_cndmask_b32_e32 v35, 0x7f, v32, vcc_lo
	.loc	1 68 56                         ; persistent_matmul.py:68:56
	v_add_co_u32 v32, vcc_lo, v117, v120
	s_wait_alu depctr_va_vcc(0)
	v_add_co_ci_u32_e64 v33, null, v118, v121, vcc_lo
	.loc	1 71 31                         ; persistent_matmul.py:71:31
	v_or_b32_e32 v34, v35, v34
	.loc	1 74 25                         ; persistent_matmul.py:74:25
	global_store_b8 v[32:33], v34, off
	s_wait_alu depctr_sa_sdst(0)
	s_or_b32 exec_lo, exec_lo, s0
	.loc	1 69 43                         ; persistent_matmul.py:69:43
	s_and_b32 s1, s10, s13
	.loc	1 74 25                         ; persistent_matmul.py:74:25
	s_wait_alu depctr_sa_sdst(0)
	s_and_saveexec_b32 s0, s1
	s_cbranch_execz .LBB0_167
.LBB0_197:                              ;   in Loop: Header=BB0_69 Depth=1
	.loc	1 71 31                         ; persistent_matmul.py:71:31
	v_and_b32_e32 v32, 0x7fffffff, v5
	v_lshrrev_b32_e32 v34, 24, v5
	s_delay_alu instid0(VALU_DEP_2) | instskip(SKIP_1) | instid1(VALU_DEP_3)
	v_bfe_u32 v33, v32, 20, 1
	v_cmp_gt_u32_e32 vcc_lo, 0x43e80000, v32
	v_and_b32_e32 v34, 0x80, v34
	s_delay_alu instid0(VALU_DEP_3) | instskip(NEXT) | instid1(VALU_DEP_1)
	v_add3_u32 v33, v32, v33, 0x7ffff
	v_and_b32_e32 v33, 0xfff00000, v33
	s_delay_alu instid0(VALU_DEP_1) | instskip(NEXT) | instid1(VALU_DEP_1)
	v_max_u32_e32 v33, 0x3c800000, v33
	v_add_nc_u32_e32 v33, 0x4000000, v33
	s_delay_alu instid0(VALU_DEP_1) | instskip(SKIP_1) | instid1(VALU_DEP_1)
	v_lshrrev_b32_e32 v33, 20, v33
	s_wait_alu depctr_va_vcc(0)
	v_cndmask_b32_e32 v33, 0x7e, v33, vcc_lo
	v_cmp_lt_u32_e32 vcc_lo, 0x3c6fffff, v32
	s_wait_alu depctr_va_vcc(0)
	s_delay_alu instid0(VALU_DEP_2) | instskip(SKIP_2) | instid1(VALU_DEP_2)
	v_cndmask_b32_e32 v33, 7, v33, vcc_lo
	v_cmp_lt_u32_e32 vcc_lo, 0x3c500000, v32
	s_wait_alu depctr_va_vcc(0)
	v_cndmask_b32_e32 v33, 6, v33, vcc_lo
	v_cmp_lt_u32_e32 vcc_lo, 0x3c2fffff, v32
	s_wait_alu depctr_va_vcc(0)
	s_delay_alu instid0(VALU_DEP_2) | instskip(SKIP_2) | instid1(VALU_DEP_2)
	v_cndmask_b32_e32 v33, 5, v33, vcc_lo
	v_cmp_lt_u32_e32 vcc_lo, 0x3c100000, v32
	s_wait_alu depctr_va_vcc(0)
	v_cndmask_b32_e32 v33, 4, v33, vcc_lo
	v_cmp_lt_u32_e32 vcc_lo, 0x3bdfffff, v32
	s_wait_alu depctr_va_vcc(0)
	s_delay_alu instid0(VALU_DEP_2) | instskip(SKIP_2) | instid1(VALU_DEP_2)
	v_cndmask_b32_e32 v33, 3, v33, vcc_lo
	v_cmp_lt_u32_e32 vcc_lo, 0x3ba00000, v32
	s_wait_alu depctr_va_vcc(0)
	v_cndmask_b32_e32 v33, 2, v33, vcc_lo
	v_cmp_lt_u32_e32 vcc_lo, 0x3b3fffff, v32
	s_wait_alu depctr_va_vcc(0)
	s_delay_alu instid0(VALU_DEP_2) | instskip(SKIP_2) | instid1(VALU_DEP_2)
	v_cndmask_b32_e32 v33, 1, v33, vcc_lo
	v_cmp_lt_u32_e32 vcc_lo, 0x3a800000, v32
	s_wait_alu depctr_va_vcc(0)
	v_cndmask_b32_e32 v32, 0, v33, vcc_lo
	v_cmp_o_f32_e32 vcc_lo, v5, v5
	s_wait_alu depctr_va_vcc(0)
	s_delay_alu instid0(VALU_DEP_2) | instskip(SKIP_3) | instid1(VALU_DEP_3)
	v_cndmask_b32_e32 v35, 0x7f, v32, vcc_lo
	.loc	1 68 56                         ; persistent_matmul.py:68:56
	v_add_co_u32 v32, vcc_lo, v117, v122
	s_wait_alu depctr_va_vcc(0)
	v_add_co_ci_u32_e64 v33, null, v118, v123, vcc_lo
	.loc	1 71 31                         ; persistent_matmul.py:71:31
	v_or_b32_e32 v34, v35, v34
	.loc	1 74 25                         ; persistent_matmul.py:74:25
	global_store_b8 v[32:33], v34, off
	s_wait_alu depctr_sa_sdst(0)
	s_or_b32 exec_lo, exec_lo, s0
	.loc	1 69 43                         ; persistent_matmul.py:69:43
	s_and_b32 s1, s10, s14
	.loc	1 74 25                         ; persistent_matmul.py:74:25
	s_wait_alu depctr_sa_sdst(0)
	s_and_saveexec_b32 s0, s1
	s_cbranch_execz .LBB0_168
.LBB0_198:                              ;   in Loop: Header=BB0_69 Depth=1
	.loc	1 71 31                         ; persistent_matmul.py:71:31
	v_and_b32_e32 v32, 0x7fffffff, v6
	v_lshrrev_b32_e32 v34, 24, v6
	s_delay_alu instid0(VALU_DEP_2) | instskip(SKIP_1) | instid1(VALU_DEP_3)
	v_bfe_u32 v33, v32, 20, 1
	v_cmp_gt_u32_e32 vcc_lo, 0x43e80000, v32
	v_and_b32_e32 v34, 0x80, v34
	s_delay_alu instid0(VALU_DEP_3) | instskip(NEXT) | instid1(VALU_DEP_1)
	v_add3_u32 v33, v32, v33, 0x7ffff
	v_and_b32_e32 v33, 0xfff00000, v33
	s_delay_alu instid0(VALU_DEP_1) | instskip(NEXT) | instid1(VALU_DEP_1)
	v_max_u32_e32 v33, 0x3c800000, v33
	v_add_nc_u32_e32 v33, 0x4000000, v33
	s_delay_alu instid0(VALU_DEP_1) | instskip(SKIP_1) | instid1(VALU_DEP_1)
	v_lshrrev_b32_e32 v33, 20, v33
	s_wait_alu depctr_va_vcc(0)
	v_cndmask_b32_e32 v33, 0x7e, v33, vcc_lo
	v_cmp_lt_u32_e32 vcc_lo, 0x3c6fffff, v32
	s_wait_alu depctr_va_vcc(0)
	s_delay_alu instid0(VALU_DEP_2) | instskip(SKIP_2) | instid1(VALU_DEP_2)
	v_cndmask_b32_e32 v33, 7, v33, vcc_lo
	v_cmp_lt_u32_e32 vcc_lo, 0x3c500000, v32
	s_wait_alu depctr_va_vcc(0)
	v_cndmask_b32_e32 v33, 6, v33, vcc_lo
	v_cmp_lt_u32_e32 vcc_lo, 0x3c2fffff, v32
	s_wait_alu depctr_va_vcc(0)
	s_delay_alu instid0(VALU_DEP_2) | instskip(SKIP_2) | instid1(VALU_DEP_2)
	v_cndmask_b32_e32 v33, 5, v33, vcc_lo
	v_cmp_lt_u32_e32 vcc_lo, 0x3c100000, v32
	;; [unrolled: 7-line block ×4, first 2 shown]
	s_wait_alu depctr_va_vcc(0)
	v_cndmask_b32_e32 v32, 0, v33, vcc_lo
	v_cmp_o_f32_e32 vcc_lo, v6, v6
	s_wait_alu depctr_va_vcc(0)
	s_delay_alu instid0(VALU_DEP_2) | instskip(SKIP_3) | instid1(VALU_DEP_3)
	v_cndmask_b32_e32 v35, 0x7f, v32, vcc_lo
	.loc	1 68 56                         ; persistent_matmul.py:68:56
	v_add_co_u32 v32, vcc_lo, v117, v124
	s_wait_alu depctr_va_vcc(0)
	v_add_co_ci_u32_e64 v33, null, v118, v125, vcc_lo
	.loc	1 71 31                         ; persistent_matmul.py:71:31
	v_or_b32_e32 v34, v35, v34
	.loc	1 74 25                         ; persistent_matmul.py:74:25
	global_store_b8 v[32:33], v34, off
	s_wait_alu depctr_sa_sdst(0)
	s_or_b32 exec_lo, exec_lo, s0
	.loc	1 69 43                         ; persistent_matmul.py:69:43
	s_and_b32 s1, s10, s15
	.loc	1 74 25                         ; persistent_matmul.py:74:25
	s_wait_alu depctr_sa_sdst(0)
	s_and_saveexec_b32 s0, s1
	s_cbranch_execz .LBB0_67
.LBB0_199:                              ;   in Loop: Header=BB0_69 Depth=1
	.loc	1 71 31                         ; persistent_matmul.py:71:31
	v_and_b32_e32 v32, 0x7fffffff, v7
	v_lshrrev_b32_e32 v34, 24, v7
	s_delay_alu instid0(VALU_DEP_2) | instskip(SKIP_1) | instid1(VALU_DEP_3)
	v_bfe_u32 v33, v32, 20, 1
	v_cmp_gt_u32_e32 vcc_lo, 0x43e80000, v32
	v_and_b32_e32 v34, 0x80, v34
	s_delay_alu instid0(VALU_DEP_3) | instskip(NEXT) | instid1(VALU_DEP_1)
	v_add3_u32 v33, v32, v33, 0x7ffff
	v_and_b32_e32 v33, 0xfff00000, v33
	s_delay_alu instid0(VALU_DEP_1) | instskip(NEXT) | instid1(VALU_DEP_1)
	v_max_u32_e32 v33, 0x3c800000, v33
	v_add_nc_u32_e32 v33, 0x4000000, v33
	s_delay_alu instid0(VALU_DEP_1) | instskip(SKIP_1) | instid1(VALU_DEP_1)
	v_lshrrev_b32_e32 v33, 20, v33
	s_wait_alu depctr_va_vcc(0)
	v_cndmask_b32_e32 v33, 0x7e, v33, vcc_lo
	v_cmp_lt_u32_e32 vcc_lo, 0x3c6fffff, v32
	s_wait_alu depctr_va_vcc(0)
	s_delay_alu instid0(VALU_DEP_2) | instskip(SKIP_2) | instid1(VALU_DEP_2)
	v_cndmask_b32_e32 v33, 7, v33, vcc_lo
	v_cmp_lt_u32_e32 vcc_lo, 0x3c500000, v32
	s_wait_alu depctr_va_vcc(0)
	v_cndmask_b32_e32 v33, 6, v33, vcc_lo
	v_cmp_lt_u32_e32 vcc_lo, 0x3c2fffff, v32
	s_wait_alu depctr_va_vcc(0)
	s_delay_alu instid0(VALU_DEP_2) | instskip(SKIP_2) | instid1(VALU_DEP_2)
	v_cndmask_b32_e32 v33, 5, v33, vcc_lo
	v_cmp_lt_u32_e32 vcc_lo, 0x3c100000, v32
	;; [unrolled: 7-line block ×4, first 2 shown]
	s_wait_alu depctr_va_vcc(0)
	v_cndmask_b32_e32 v32, 0, v33, vcc_lo
	v_cmp_o_f32_e32 vcc_lo, v7, v7
	s_wait_alu depctr_va_vcc(0)
	s_delay_alu instid0(VALU_DEP_2) | instskip(SKIP_3) | instid1(VALU_DEP_3)
	v_cndmask_b32_e32 v35, 0x7f, v32, vcc_lo
	.loc	1 68 56                         ; persistent_matmul.py:68:56
	v_add_co_u32 v32, vcc_lo, v117, v126
	s_wait_alu depctr_va_vcc(0)
	v_add_co_ci_u32_e64 v33, null, v118, v127, vcc_lo
	.loc	1 71 31                         ; persistent_matmul.py:71:31
	v_or_b32_e32 v34, v35, v34
	.loc	1 74 25                         ; persistent_matmul.py:74:25
	global_store_b8 v[32:33], v34, off
	s_branch .LBB0_67
.LBB0_200:                              ; %._crit_edge.loopexit
	.loc	1 64 21                         ; persistent_matmul.py:64:21
	s_add_co_i32 s0, s97, 0x130
	s_branch .LBB0_202
.LBB0_201:
	.loc	1 0 21 is_stmt 0                ; persistent_matmul.py:0:21
	v_mov_b32_e32 v7, 0
	s_mov_b32 s0, ttmp9
	s_delay_alu instid0(VALU_DEP_1)
	v_dual_mov_b32 v6, v7 :: v_dual_mov_b32 v5, v7
	v_dual_mov_b32 v4, v7 :: v_dual_mov_b32 v3, v7
	;; [unrolled: 1-line block ×15, first 2 shown]
	v_mov_b32_e32 v24, v7
.LBB0_202:                              ; %._crit_edge
	.loc	1 60 24 is_stmt 1               ; persistent_matmul.py:60:24
	s_wait_loadcnt_dscnt 0x0
	s_barrier_signal -1
	.loc	1 62 39                         ; persistent_matmul.py:62:39
	s_and_not1_b32 vcc_lo, exec_lo, s40
	.loc	1 60 24                         ; persistent_matmul.py:60:24
	s_barrier_wait -1
	global_inv scope:SCOPE_SE
	.loc	1 62 39                         ; persistent_matmul.py:62:39
	s_wait_alu depctr_sa_sdst(0)
	s_cbranch_vccnz .LBB0_204
; %bb.203:
	.loc	1 61 24                         ; persistent_matmul.py:61:24
	v_lshlrev_b32_e32 v32, 6, v70
	s_and_b32 s1, s39, 32
	.loc	1 60 24                         ; persistent_matmul.py:60:24
	v_and_b32_e32 v33, 48, v71
	.loc	1 61 24                         ; persistent_matmul.py:61:24
	s_wait_alu depctr_sa_sdst(0)
	s_delay_alu instid0(VALU_DEP_2) | instskip(NEXT) | instid1(VALU_DEP_2)
	v_add3_u32 v32, s1, 0, v32
	.loc	1 60 24                         ; persistent_matmul.py:60:24
	v_lshl_or_b32 v33, v67, 6, v33
	s_delay_alu instid0(VALU_DEP_2) | instskip(NEXT) | instid1(VALU_DEP_2)
	.loc	1 61 24                         ; persistent_matmul.py:61:24
	v_lshl_add_u32 v48, v67, 1, v32
	.loc	1 60 24                         ; persistent_matmul.py:60:24
	v_xor_b32_e32 v35, v33, v70
	.loc	1 61 24                         ; persistent_matmul.py:61:24
	ds_load_u16 v32, v48 offset:6144
	ds_load_u16 v39, v48 offset:4928
	;; [unrolled: 1-line block ×9, first 2 shown]
	s_wait_dscnt 0x8
	ds_load_u16_d16_hi v32, v48 offset:6272
	ds_load_u16 v43, v48 offset:4864
	ds_load_u16 v42, v48 offset:4608
	;; [unrolled: 1-line block ×3, first 2 shown]
	.loc	1 60 24                         ; persistent_matmul.py:60:24
	v_lshl_or_b32 v67, s38, 9, v35
	.loc	1 61 24                         ; persistent_matmul.py:61:24
	ds_load_u16 v47, v48 offset:6976
	ds_load_u16 v46, v48 offset:6720
	;; [unrolled: 1-line block ×4, first 2 shown]
	.loc	1 60 24                         ; persistent_matmul.py:60:24
	v_xad_u32 v79, v67, 32, 0
	v_add_nc_u32_e32 v75, 0, v67
	.loc	1 61 24                         ; persistent_matmul.py:61:24
	s_wait_dscnt 0xf
	ds_load_u16_d16_hi v39, v48 offset:5056
	s_wait_dscnt 0xf
	ds_load_u16_d16_hi v33, v48 offset:6528
	.loc	1 60 24                         ; persistent_matmul.py:60:24
	ds_load_b128 v[67:70], v79
	ds_load_b128 v[71:74], v75 offset:2048
	ds_load_b128 v[75:78], v75
	.loc	1 61 24                         ; persistent_matmul.py:61:24
	s_wait_dscnt 0xf
	ds_load_u16_d16_hi v41, v48 offset:4480
	ds_load_u16_d16_hi v36, v48 offset:4288
	;; [unrolled: 1-line block ×4, first 2 shown]
	s_wait_dscnt 0xf
	ds_load_u16_d16_hi v43, v48 offset:4992
	s_wait_dscnt 0xf
	ds_load_u16_d16_hi v42, v48 offset:4736
	;; [unrolled: 2-line block ×3, first 2 shown]
	ds_load_u16_d16_hi v34, v48 offset:6784
	ds_load_u16_d16_hi v45, v48 offset:6592
	s_wait_dscnt 0x11
	ds_load_u16_d16_hi v47, v48 offset:7104
	s_wait_dscnt 0x11
	;; [unrolled: 2-line block ×4, first 2 shown]
	ds_load_u16_d16_hi v44, v48 offset:6336
	.loc	1 60 24                         ; persistent_matmul.py:60:24
	ds_load_b128 v[79:82], v79 offset:2048
	.loc	1 62 39                         ; persistent_matmul.py:62:39
	s_wait_dscnt 0xa
	v_wmma_f32_16x16x16_f16 v[16:23], v[36:39], v[75:78], v[16:23]
	v_wmma_f32_16x16x16_f16 v[0:7], v[36:39], v[71:74], v[0:7]
	s_wait_dscnt 0x7
	v_wmma_f32_16x16x16_f16 v[24:31], v[40:43], v[75:78], v[24:31]
	v_wmma_f32_16x16x16_f16 v[8:15], v[40:43], v[71:74], v[8:15]
	s_wait_dscnt 0x2
	s_delay_alu instid0(VALU_DEP_2)
	v_wmma_f32_16x16x16_f16 v[24:31], v[32:35], v[67:70], v[24:31]
	s_wait_dscnt 0x1
	v_wmma_f32_16x16x16_f16 v[16:23], v[44:47], v[67:70], v[16:23]
	s_wait_dscnt 0x0
	v_wmma_f32_16x16x16_f16 v[8:15], v[32:35], v[79:82], v[8:15]
	v_wmma_f32_16x16x16_f16 v[0:7], v[44:47], v[79:82], v[0:7]
.LBB0_204:
	.loc	1 43 59                         ; persistent_matmul.py:43:59
	s_cmp_lg_u32 s82, s72
	s_cselect_b32 s1, -1, 0
	s_wait_alu depctr_sa_sdst(0)
	s_or_b32 s1, s45, s1
	s_wait_alu depctr_sa_sdst(0)
	s_and_b32 vcc_lo, exec_lo, s1
	s_wait_alu depctr_sa_sdst(0)
	s_cbranch_vccnz .LBB0_255
; %bb.205:
.Ltmp49:
	.loc	1 10 26                         ; persistent_matmul.py:10:26 @[ persistent_matmul.py:65:90 ]
	s_abs_i32 s2, s0
	s_mov_b32 s3, 0
	s_ashr_i32 s1, s0, 31
	s_wait_alu depctr_sa_sdst(0)
	s_mul_u64 s[4:5], s[2:3], s[24:25]
	s_xor_b32 s4, s1, s37
	s_wait_alu depctr_sa_sdst(0)
	s_mul_i32 s3, s5, s36
	s_add_co_i32 s6, s5, 1
	s_wait_alu depctr_sa_sdst(0)
	s_sub_co_i32 s3, s2, s3
	s_wait_alu depctr_sa_sdst(0)
	s_sub_co_i32 s7, s3, s36
	s_cmp_ge_u32 s3, s36
	s_cselect_b32 s5, s6, s5
	s_wait_alu depctr_sa_sdst(0)
	s_cselect_b32 s3, s7, s3
	s_add_co_i32 s6, s5, 1
	s_wait_alu depctr_sa_sdst(0)
	s_cmp_ge_u32 s3, s36
	s_cselect_b32 s3, s6, s5
	s_wait_alu depctr_sa_sdst(0)
	s_xor_b32 s3, s3, s4
	s_wait_alu depctr_sa_sdst(0)
	s_sub_co_i32 s3, s3, s4
	.loc	1 11 29                         ; persistent_matmul.py:11:29 @[ persistent_matmul.py:65:90 ]
	s_wait_alu depctr_sa_sdst(0)
	s_lshl_b32 s4, s3, 3
	.loc	1 14 23                         ; persistent_matmul.py:14:23 @[ persistent_matmul.py:65:90 ]
	s_mul_i32 s3, s3, s35
	.loc	1 12 35                         ; persistent_matmul.py:12:35 @[ persistent_matmul.py:65:90 ]
	s_wait_alu depctr_sa_sdst(0)
	s_sub_co_i32 s5, s33, s4
	.loc	1 12 48 is_stmt 0               ; persistent_matmul.py:12:48 @[ persistent_matmul.py:65:90 ]
	s_wait_alu depctr_sa_sdst(0)
	s_min_i32 s5, s5, 8
	.loc	1 13 37 is_stmt 1               ; persistent_matmul.py:13:37 @[ persistent_matmul.py:65:90 ]
	s_wait_alu depctr_sa_sdst(0)
	s_abs_i32 s6, s5
	s_wait_alu depctr_sa_sdst(0)
	s_cvt_f32_u32 s7, s6
	s_sub_co_i32 s8, 0, s6
	s_wait_alu depctr_sa_sdst(0)
	s_delay_alu instid0(SALU_CYCLE_1) | instskip(NEXT) | instid1(TRANS32_DEP_1)
	v_rcp_iflag_f32_e32 v32, s7
	v_readfirstlane_b32 s7, v32
	s_mul_f32 s7, s7, 0x4f7ffffe
	s_wait_alu depctr_sa_sdst(0)
	s_delay_alu instid0(SALU_CYCLE_2) | instskip(SKIP_1) | instid1(SALU_CYCLE_2)
	s_cvt_u32_f32 s7, s7
	s_wait_alu depctr_sa_sdst(0)
	s_mul_i32 s8, s8, s7
	s_wait_alu depctr_sa_sdst(0)
	s_mul_hi_u32 s8, s7, s8
	s_wait_alu depctr_sa_sdst(0)
	s_add_co_i32 s7, s7, s8
	s_wait_alu depctr_sa_sdst(0)
	s_mul_hi_u32 s8, s2, s7
	s_wait_alu depctr_sa_sdst(0)
	s_mul_i32 s8, s8, s6
	s_wait_alu depctr_sa_sdst(0)
	s_sub_co_i32 s2, s2, s8
	s_wait_alu depctr_sa_sdst(0)
	s_sub_co_i32 s8, s2, s6
	s_cmp_ge_u32 s2, s6
	s_wait_alu depctr_sa_sdst(0)
	s_cselect_b32 s2, s8, s2
	s_wait_alu depctr_sa_sdst(0)
	s_sub_co_i32 s8, s2, s6
	s_cmp_ge_u32 s2, s6
	s_wait_alu depctr_sa_sdst(0)
	s_cselect_b32 s2, s8, s2
	.loc	1 14 23                         ; persistent_matmul.py:14:23 @[ persistent_matmul.py:65:90 ]
	s_sub_co_i32 s0, s0, s3
	.loc	1 13 37                         ; persistent_matmul.py:13:37 @[ persistent_matmul.py:65:90 ]
	s_wait_alu depctr_sa_sdst(0)
	s_xor_b32 s2, s2, s1
	.loc	1 14 44                         ; persistent_matmul.py:14:44 @[ persistent_matmul.py:65:90 ]
	s_xor_b32 s3, s0, s5
	s_abs_i32 s0, s0
	.loc	1 13 37                         ; persistent_matmul.py:13:37 @[ persistent_matmul.py:65:90 ]
	s_wait_alu depctr_sa_sdst(0)
	s_sub_co_i32 s1, s2, s1
	.loc	1 14 44                         ; persistent_matmul.py:14:44 @[ persistent_matmul.py:65:90 ]
	s_mul_hi_u32 s2, s0, s7
	s_ashr_i32 s3, s3, 31
	s_wait_alu depctr_sa_sdst(0)
	s_mul_i32 s5, s2, s6
	.loc	1 13 27                         ; persistent_matmul.py:13:27 @[ persistent_matmul.py:65:90 ]
	s_add_co_i32 s4, s4, s1
	.loc	1 14 44                         ; persistent_matmul.py:14:44 @[ persistent_matmul.py:65:90 ]
	s_wait_alu depctr_sa_sdst(0)
	s_sub_co_i32 s0, s0, s5
	s_add_co_i32 s1, s2, 1
	s_wait_alu depctr_sa_sdst(0)
	s_sub_co_i32 s5, s0, s6
	s_cmp_ge_u32 s0, s6
	s_cselect_b32 s1, s1, s2
	s_wait_alu depctr_sa_sdst(0)
	s_cselect_b32 s0, s5, s0
	s_add_co_i32 s2, s1, 1
	s_wait_alu depctr_sa_sdst(0)
	s_cmp_ge_u32 s0, s6
	s_cselect_b32 s0, s2, s1
.Ltmp50:
	.loc	1 66 26                         ; persistent_matmul.py:66:26
	s_lshl_b32 s16, s4, 6
.Ltmp51:
	.loc	1 14 44                         ; persistent_matmul.py:14:44 @[ persistent_matmul.py:65:90 ]
	s_wait_alu depctr_sa_sdst(0)
	s_xor_b32 s0, s0, s3
.Ltmp52:
	.loc	1 66 41                         ; persistent_matmul.py:66:41
	v_or_b32_e32 v33, s16, v49
.Ltmp53:
	.loc	1 14 44                         ; persistent_matmul.py:14:44 @[ persistent_matmul.py:65:90 ]
	s_wait_alu depctr_sa_sdst(0)
	s_sub_co_i32 s0, s0, s3
.Ltmp54:
	.loc	1 67 26                         ; persistent_matmul.py:67:26
	s_wait_alu depctr_sa_sdst(0)
	s_lshl_b32 s17, s0, 6
	.loc	1 68 37                         ; persistent_matmul.py:68:37
	v_mul_lo_u32 v34, v33, s18
	.loc	1 67 41                         ; persistent_matmul.py:67:41
	s_wait_alu depctr_sa_sdst(0)
	v_or_b32_e32 v35, s17, v50
	.loc	1 69 37                         ; persistent_matmul.py:69:37
	v_cmp_gt_i32_e64 s10, s22, v33
	s_delay_alu instid0(VALU_DEP_2) | instskip(SKIP_4) | instid1(VALU_DEP_2)
	.loc	1 68 68                         ; persistent_matmul.py:68:68
	v_mul_lo_u32 v32, v35, s19
	.loc	1 69 62                         ; persistent_matmul.py:69:62
	v_cmp_gt_i32_e32 vcc_lo, s23, v35
	.loc	1 68 25                         ; persistent_matmul.py:68:25
	v_ashrrev_i32_e32 v36, 31, v34
	v_add_co_u32 v44, s0, s20, v34
	s_wait_alu depctr_va_sdst(0)
	v_add_co_ci_u32_e64 v45, null, s21, v36, s0
	.loc	1 68 56 is_stmt 0               ; persistent_matmul.py:68:56
	v_ashrrev_i32_e32 v33, 31, v32
	.loc	1 69 43 is_stmt 1               ; persistent_matmul.py:69:43
	s_and_b32 s0, s10, vcc_lo
	.loc	1 74 25                         ; persistent_matmul.py:74:25
	s_wait_alu depctr_sa_sdst(0)
	s_and_saveexec_b32 s1, s0
	s_cbranch_execz .LBB0_207
; %bb.206:
	.loc	1 71 31                         ; persistent_matmul.py:71:31
	v_and_b32_e32 v34, 0x7fffffff, v24
	v_lshrrev_b32_e32 v36, 24, v24
	s_delay_alu instid0(VALU_DEP_2) | instskip(SKIP_1) | instid1(VALU_DEP_2)
	v_bfe_u32 v35, v34, 20, 1
	v_cmp_gt_u32_e64 s0, 0x43e80000, v34
	v_add3_u32 v35, v34, v35, 0x7ffff
	s_delay_alu instid0(VALU_DEP_1) | instskip(NEXT) | instid1(VALU_DEP_1)
	v_and_b32_e32 v35, 0xfff00000, v35
	v_max_u32_e32 v35, 0x3c800000, v35
	s_delay_alu instid0(VALU_DEP_1) | instskip(NEXT) | instid1(VALU_DEP_1)
	v_add_nc_u32_e32 v35, 0x4000000, v35
	v_lshrrev_b32_e32 v35, 20, v35
	s_wait_alu depctr_va_sdst(0)
	s_delay_alu instid0(VALU_DEP_1) | instskip(SKIP_2) | instid1(VALU_DEP_1)
	v_cndmask_b32_e64 v35, 0x7e, v35, s0
	v_cmp_lt_u32_e64 s0, 0x3c6fffff, v34
	s_wait_alu depctr_va_sdst(0)
	v_cndmask_b32_e64 v35, 7, v35, s0
	v_cmp_lt_u32_e64 s0, 0x3c500000, v34
	s_wait_alu depctr_va_sdst(0)
	s_delay_alu instid0(VALU_DEP_1) | instskip(SKIP_2) | instid1(VALU_DEP_1)
	v_cndmask_b32_e64 v35, 6, v35, s0
	v_cmp_lt_u32_e64 s0, 0x3c2fffff, v34
	s_wait_alu depctr_va_sdst(0)
	v_cndmask_b32_e64 v35, 5, v35, s0
	v_cmp_lt_u32_e64 s0, 0x3c100000, v34
	;; [unrolled: 7-line block ×4, first 2 shown]
	s_wait_alu depctr_va_sdst(0)
	s_delay_alu instid0(VALU_DEP_1) | instskip(SKIP_3) | instid1(VALU_DEP_2)
	v_cndmask_b32_e64 v34, 0, v35, s0
	v_cmp_o_f32_e64 s0, v24, v24
	v_and_b32_e32 v35, 0x80, v36
	s_wait_alu depctr_va_sdst(0)
	v_cndmask_b32_e64 v24, 0x7f, v34, s0
	.loc	1 68 56                         ; persistent_matmul.py:68:56
	v_add_co_u32 v34, s0, v44, v32
	s_delay_alu instid0(VALU_DEP_2)
	.loc	1 71 31                         ; persistent_matmul.py:71:31
	v_or_b32_e32 v24, v24, v35
	.loc	1 68 56                         ; persistent_matmul.py:68:56
	s_wait_alu depctr_va_sdst(0)
	v_add_co_ci_u32_e64 v35, null, v45, v33, s0
	.loc	1 74 25                         ; persistent_matmul.py:74:25
	global_store_b8 v[34:35], v24, off
.LBB0_207:
	.loc	1 0 25 is_stmt 0                ; persistent_matmul.py:0:25
	s_wait_alu depctr_sa_sdst(0)
	s_or_b32 exec_lo, exec_lo, s1
	.loc	1 67 41 is_stmt 1               ; persistent_matmul.py:67:41
	v_or_b32_e32 v34, s17, v52
	s_delay_alu instid0(VALU_DEP_1)
	.loc	1 68 68                         ; persistent_matmul.py:68:68
	v_mul_lo_u32 v24, v34, s19
	.loc	1 69 62                         ; persistent_matmul.py:69:62
	v_cmp_gt_i32_e64 s0, s23, v34
	.loc	1 69 43 is_stmt 0               ; persistent_matmul.py:69:43
	s_and_b32 s1, s10, s0
	.loc	1 68 56 is_stmt 1               ; persistent_matmul.py:68:56
	v_ashrrev_i32_e32 v34, 31, v24
	.loc	1 74 25                         ; persistent_matmul.py:74:25
	s_wait_alu depctr_sa_sdst(0)
	s_and_saveexec_b32 s2, s1
	s_cbranch_execz .LBB0_209
; %bb.208:
	.loc	1 71 31                         ; persistent_matmul.py:71:31
	v_and_b32_e32 v35, 0x7fffffff, v25
	v_lshrrev_b32_e32 v37, 24, v25
	s_delay_alu instid0(VALU_DEP_2) | instskip(SKIP_1) | instid1(VALU_DEP_3)
	v_bfe_u32 v36, v35, 20, 1
	v_cmp_gt_u32_e64 s1, 0x43e80000, v35
	v_and_b32_e32 v37, 0x80, v37
	s_delay_alu instid0(VALU_DEP_3) | instskip(NEXT) | instid1(VALU_DEP_1)
	v_add3_u32 v36, v35, v36, 0x7ffff
	v_and_b32_e32 v36, 0xfff00000, v36
	s_delay_alu instid0(VALU_DEP_1) | instskip(NEXT) | instid1(VALU_DEP_1)
	v_max_u32_e32 v36, 0x3c800000, v36
	v_add_nc_u32_e32 v36, 0x4000000, v36
	s_delay_alu instid0(VALU_DEP_1) | instskip(SKIP_1) | instid1(VALU_DEP_1)
	v_lshrrev_b32_e32 v36, 20, v36
	s_wait_alu depctr_va_sdst(0)
	v_cndmask_b32_e64 v36, 0x7e, v36, s1
	v_cmp_lt_u32_e64 s1, 0x3c6fffff, v35
	s_wait_alu depctr_va_sdst(0)
	s_delay_alu instid0(VALU_DEP_1) | instskip(SKIP_2) | instid1(VALU_DEP_1)
	v_cndmask_b32_e64 v36, 7, v36, s1
	v_cmp_lt_u32_e64 s1, 0x3c500000, v35
	s_wait_alu depctr_va_sdst(0)
	v_cndmask_b32_e64 v36, 6, v36, s1
	v_cmp_lt_u32_e64 s1, 0x3c2fffff, v35
	s_wait_alu depctr_va_sdst(0)
	s_delay_alu instid0(VALU_DEP_1) | instskip(SKIP_2) | instid1(VALU_DEP_1)
	v_cndmask_b32_e64 v36, 5, v36, s1
	v_cmp_lt_u32_e64 s1, 0x3c100000, v35
	;; [unrolled: 7-line block ×4, first 2 shown]
	s_wait_alu depctr_va_sdst(0)
	v_cndmask_b32_e64 v35, 0, v36, s1
	v_cmp_o_f32_e64 s1, v25, v25
	s_wait_alu depctr_va_sdst(0)
	s_delay_alu instid0(VALU_DEP_1) | instskip(SKIP_3) | instid1(VALU_DEP_3)
	v_cndmask_b32_e64 v25, 0x7f, v35, s1
	.loc	1 68 56                         ; persistent_matmul.py:68:56
	v_add_co_u32 v35, s1, v44, v24
	s_wait_alu depctr_va_sdst(0)
	v_add_co_ci_u32_e64 v36, null, v45, v34, s1
	.loc	1 71 31                         ; persistent_matmul.py:71:31
	v_or_b32_e32 v25, v25, v37
	.loc	1 74 25                         ; persistent_matmul.py:74:25
	global_store_b8 v[35:36], v25, off
.LBB0_209:
	.loc	1 0 25 is_stmt 0                ; persistent_matmul.py:0:25
	s_wait_alu depctr_sa_sdst(0)
	s_or_b32 exec_lo, exec_lo, s2
	.loc	1 67 41 is_stmt 1               ; persistent_matmul.py:67:41
	v_or_b32_e32 v35, s17, v53
	s_delay_alu instid0(VALU_DEP_1)
	.loc	1 68 68                         ; persistent_matmul.py:68:68
	v_mul_lo_u32 v25, v35, s19
	.loc	1 69 62                         ; persistent_matmul.py:69:62
	v_cmp_gt_i32_e64 s1, s23, v35
	.loc	1 69 43 is_stmt 0               ; persistent_matmul.py:69:43
	s_and_b32 s2, s10, s1
	.loc	1 68 56 is_stmt 1               ; persistent_matmul.py:68:56
	v_ashrrev_i32_e32 v35, 31, v25
	.loc	1 74 25                         ; persistent_matmul.py:74:25
	s_wait_alu depctr_sa_sdst(0)
	s_and_saveexec_b32 s3, s2
	s_cbranch_execz .LBB0_211
; %bb.210:
	.loc	1 71 31                         ; persistent_matmul.py:71:31
	v_and_b32_e32 v36, 0x7fffffff, v26
	v_lshrrev_b32_e32 v38, 24, v26
	s_delay_alu instid0(VALU_DEP_2) | instskip(SKIP_1) | instid1(VALU_DEP_3)
	v_bfe_u32 v37, v36, 20, 1
	v_cmp_gt_u32_e64 s2, 0x43e80000, v36
	v_and_b32_e32 v38, 0x80, v38
	s_delay_alu instid0(VALU_DEP_3) | instskip(NEXT) | instid1(VALU_DEP_1)
	v_add3_u32 v37, v36, v37, 0x7ffff
	v_and_b32_e32 v37, 0xfff00000, v37
	s_delay_alu instid0(VALU_DEP_1) | instskip(NEXT) | instid1(VALU_DEP_1)
	v_max_u32_e32 v37, 0x3c800000, v37
	v_add_nc_u32_e32 v37, 0x4000000, v37
	s_delay_alu instid0(VALU_DEP_1) | instskip(SKIP_1) | instid1(VALU_DEP_1)
	v_lshrrev_b32_e32 v37, 20, v37
	s_wait_alu depctr_va_sdst(0)
	v_cndmask_b32_e64 v37, 0x7e, v37, s2
	v_cmp_lt_u32_e64 s2, 0x3c6fffff, v36
	s_wait_alu depctr_va_sdst(0)
	s_delay_alu instid0(VALU_DEP_1) | instskip(SKIP_2) | instid1(VALU_DEP_1)
	v_cndmask_b32_e64 v37, 7, v37, s2
	v_cmp_lt_u32_e64 s2, 0x3c500000, v36
	s_wait_alu depctr_va_sdst(0)
	v_cndmask_b32_e64 v37, 6, v37, s2
	v_cmp_lt_u32_e64 s2, 0x3c2fffff, v36
	s_wait_alu depctr_va_sdst(0)
	s_delay_alu instid0(VALU_DEP_1) | instskip(SKIP_2) | instid1(VALU_DEP_1)
	v_cndmask_b32_e64 v37, 5, v37, s2
	v_cmp_lt_u32_e64 s2, 0x3c100000, v36
	;; [unrolled: 7-line block ×4, first 2 shown]
	s_wait_alu depctr_va_sdst(0)
	v_cndmask_b32_e64 v36, 0, v37, s2
	v_cmp_o_f32_e64 s2, v26, v26
	s_wait_alu depctr_va_sdst(0)
	s_delay_alu instid0(VALU_DEP_1) | instskip(SKIP_3) | instid1(VALU_DEP_3)
	v_cndmask_b32_e64 v26, 0x7f, v36, s2
	.loc	1 68 56                         ; persistent_matmul.py:68:56
	v_add_co_u32 v36, s2, v44, v25
	s_wait_alu depctr_va_sdst(0)
	v_add_co_ci_u32_e64 v37, null, v45, v35, s2
	.loc	1 71 31                         ; persistent_matmul.py:71:31
	v_or_b32_e32 v26, v26, v38
	.loc	1 74 25                         ; persistent_matmul.py:74:25
	global_store_b8 v[36:37], v26, off
.LBB0_211:
	.loc	1 0 25 is_stmt 0                ; persistent_matmul.py:0:25
	s_wait_alu depctr_sa_sdst(0)
	s_or_b32 exec_lo, exec_lo, s3
	.loc	1 67 41 is_stmt 1               ; persistent_matmul.py:67:41
	v_or_b32_e32 v36, s17, v54
	s_delay_alu instid0(VALU_DEP_1)
	.loc	1 68 68                         ; persistent_matmul.py:68:68
	v_mul_lo_u32 v26, v36, s19
	.loc	1 69 62                         ; persistent_matmul.py:69:62
	v_cmp_gt_i32_e64 s2, s23, v36
	.loc	1 69 43 is_stmt 0               ; persistent_matmul.py:69:43
	s_and_b32 s3, s10, s2
	.loc	1 68 56 is_stmt 1               ; persistent_matmul.py:68:56
	v_ashrrev_i32_e32 v36, 31, v26
	.loc	1 74 25                         ; persistent_matmul.py:74:25
	s_wait_alu depctr_sa_sdst(0)
	s_and_saveexec_b32 s4, s3
	s_cbranch_execz .LBB0_213
; %bb.212:
	.loc	1 71 31                         ; persistent_matmul.py:71:31
	v_and_b32_e32 v37, 0x7fffffff, v27
	v_lshrrev_b32_e32 v39, 24, v27
	s_delay_alu instid0(VALU_DEP_2) | instskip(SKIP_1) | instid1(VALU_DEP_3)
	v_bfe_u32 v38, v37, 20, 1
	v_cmp_gt_u32_e64 s3, 0x43e80000, v37
	v_and_b32_e32 v39, 0x80, v39
	s_delay_alu instid0(VALU_DEP_3) | instskip(NEXT) | instid1(VALU_DEP_1)
	v_add3_u32 v38, v37, v38, 0x7ffff
	v_and_b32_e32 v38, 0xfff00000, v38
	s_delay_alu instid0(VALU_DEP_1) | instskip(NEXT) | instid1(VALU_DEP_1)
	v_max_u32_e32 v38, 0x3c800000, v38
	v_add_nc_u32_e32 v38, 0x4000000, v38
	s_delay_alu instid0(VALU_DEP_1) | instskip(SKIP_1) | instid1(VALU_DEP_1)
	v_lshrrev_b32_e32 v38, 20, v38
	s_wait_alu depctr_va_sdst(0)
	v_cndmask_b32_e64 v38, 0x7e, v38, s3
	v_cmp_lt_u32_e64 s3, 0x3c6fffff, v37
	s_wait_alu depctr_va_sdst(0)
	s_delay_alu instid0(VALU_DEP_1) | instskip(SKIP_2) | instid1(VALU_DEP_1)
	v_cndmask_b32_e64 v38, 7, v38, s3
	v_cmp_lt_u32_e64 s3, 0x3c500000, v37
	s_wait_alu depctr_va_sdst(0)
	v_cndmask_b32_e64 v38, 6, v38, s3
	v_cmp_lt_u32_e64 s3, 0x3c2fffff, v37
	s_wait_alu depctr_va_sdst(0)
	s_delay_alu instid0(VALU_DEP_1) | instskip(SKIP_2) | instid1(VALU_DEP_1)
	v_cndmask_b32_e64 v38, 5, v38, s3
	v_cmp_lt_u32_e64 s3, 0x3c100000, v37
	;; [unrolled: 7-line block ×4, first 2 shown]
	s_wait_alu depctr_va_sdst(0)
	v_cndmask_b32_e64 v37, 0, v38, s3
	v_cmp_o_f32_e64 s3, v27, v27
	s_wait_alu depctr_va_sdst(0)
	s_delay_alu instid0(VALU_DEP_1) | instskip(SKIP_3) | instid1(VALU_DEP_3)
	v_cndmask_b32_e64 v27, 0x7f, v37, s3
	.loc	1 68 56                         ; persistent_matmul.py:68:56
	v_add_co_u32 v37, s3, v44, v26
	s_wait_alu depctr_va_sdst(0)
	v_add_co_ci_u32_e64 v38, null, v45, v36, s3
	.loc	1 71 31                         ; persistent_matmul.py:71:31
	v_or_b32_e32 v27, v27, v39
	.loc	1 74 25                         ; persistent_matmul.py:74:25
	global_store_b8 v[37:38], v27, off
.LBB0_213:
	.loc	1 0 25 is_stmt 0                ; persistent_matmul.py:0:25
	s_wait_alu depctr_sa_sdst(0)
	s_or_b32 exec_lo, exec_lo, s4
	.loc	1 67 41 is_stmt 1               ; persistent_matmul.py:67:41
	v_or_b32_e32 v37, s17, v55
	s_delay_alu instid0(VALU_DEP_1)
	.loc	1 68 68                         ; persistent_matmul.py:68:68
	v_mul_lo_u32 v27, v37, s19
	.loc	1 69 62                         ; persistent_matmul.py:69:62
	v_cmp_gt_i32_e64 s3, s23, v37
	.loc	1 69 43 is_stmt 0               ; persistent_matmul.py:69:43
	s_and_b32 s4, s10, s3
	.loc	1 68 56 is_stmt 1               ; persistent_matmul.py:68:56
	v_ashrrev_i32_e32 v37, 31, v27
	.loc	1 74 25                         ; persistent_matmul.py:74:25
	s_wait_alu depctr_sa_sdst(0)
	s_and_saveexec_b32 s5, s4
	s_cbranch_execz .LBB0_215
; %bb.214:
	.loc	1 71 31                         ; persistent_matmul.py:71:31
	v_and_b32_e32 v38, 0x7fffffff, v28
	v_lshrrev_b32_e32 v40, 24, v28
	s_delay_alu instid0(VALU_DEP_2) | instskip(SKIP_1) | instid1(VALU_DEP_3)
	v_bfe_u32 v39, v38, 20, 1
	v_cmp_gt_u32_e64 s4, 0x43e80000, v38
	v_and_b32_e32 v40, 0x80, v40
	s_delay_alu instid0(VALU_DEP_3) | instskip(NEXT) | instid1(VALU_DEP_1)
	v_add3_u32 v39, v38, v39, 0x7ffff
	v_and_b32_e32 v39, 0xfff00000, v39
	s_delay_alu instid0(VALU_DEP_1) | instskip(NEXT) | instid1(VALU_DEP_1)
	v_max_u32_e32 v39, 0x3c800000, v39
	v_add_nc_u32_e32 v39, 0x4000000, v39
	s_delay_alu instid0(VALU_DEP_1) | instskip(SKIP_1) | instid1(VALU_DEP_1)
	v_lshrrev_b32_e32 v39, 20, v39
	s_wait_alu depctr_va_sdst(0)
	v_cndmask_b32_e64 v39, 0x7e, v39, s4
	v_cmp_lt_u32_e64 s4, 0x3c6fffff, v38
	s_wait_alu depctr_va_sdst(0)
	s_delay_alu instid0(VALU_DEP_1) | instskip(SKIP_2) | instid1(VALU_DEP_1)
	v_cndmask_b32_e64 v39, 7, v39, s4
	v_cmp_lt_u32_e64 s4, 0x3c500000, v38
	s_wait_alu depctr_va_sdst(0)
	v_cndmask_b32_e64 v39, 6, v39, s4
	v_cmp_lt_u32_e64 s4, 0x3c2fffff, v38
	s_wait_alu depctr_va_sdst(0)
	s_delay_alu instid0(VALU_DEP_1) | instskip(SKIP_2) | instid1(VALU_DEP_1)
	v_cndmask_b32_e64 v39, 5, v39, s4
	v_cmp_lt_u32_e64 s4, 0x3c100000, v38
	;; [unrolled: 7-line block ×4, first 2 shown]
	s_wait_alu depctr_va_sdst(0)
	v_cndmask_b32_e64 v38, 0, v39, s4
	v_cmp_o_f32_e64 s4, v28, v28
	s_wait_alu depctr_va_sdst(0)
	s_delay_alu instid0(VALU_DEP_1) | instskip(SKIP_3) | instid1(VALU_DEP_3)
	v_cndmask_b32_e64 v28, 0x7f, v38, s4
	.loc	1 68 56                         ; persistent_matmul.py:68:56
	v_add_co_u32 v38, s4, v44, v27
	s_wait_alu depctr_va_sdst(0)
	v_add_co_ci_u32_e64 v39, null, v45, v37, s4
	.loc	1 71 31                         ; persistent_matmul.py:71:31
	v_or_b32_e32 v28, v28, v40
	.loc	1 74 25                         ; persistent_matmul.py:74:25
	global_store_b8 v[38:39], v28, off
.LBB0_215:
	.loc	1 0 25 is_stmt 0                ; persistent_matmul.py:0:25
	s_wait_alu depctr_sa_sdst(0)
	s_or_b32 exec_lo, exec_lo, s5
	.loc	1 67 41 is_stmt 1               ; persistent_matmul.py:67:41
	v_or_b32_e32 v38, s17, v56
	s_delay_alu instid0(VALU_DEP_1)
	.loc	1 68 68                         ; persistent_matmul.py:68:68
	v_mul_lo_u32 v28, v38, s19
	.loc	1 69 62                         ; persistent_matmul.py:69:62
	v_cmp_gt_i32_e64 s4, s23, v38
	.loc	1 69 43 is_stmt 0               ; persistent_matmul.py:69:43
	s_and_b32 s5, s10, s4
	.loc	1 68 56 is_stmt 1               ; persistent_matmul.py:68:56
	v_ashrrev_i32_e32 v38, 31, v28
	.loc	1 74 25                         ; persistent_matmul.py:74:25
	s_wait_alu depctr_sa_sdst(0)
	s_and_saveexec_b32 s6, s5
	s_cbranch_execz .LBB0_217
; %bb.216:
	.loc	1 71 31                         ; persistent_matmul.py:71:31
	v_and_b32_e32 v39, 0x7fffffff, v29
	v_lshrrev_b32_e32 v41, 24, v29
	s_delay_alu instid0(VALU_DEP_2) | instskip(SKIP_1) | instid1(VALU_DEP_3)
	v_bfe_u32 v40, v39, 20, 1
	v_cmp_gt_u32_e64 s5, 0x43e80000, v39
	v_and_b32_e32 v41, 0x80, v41
	s_delay_alu instid0(VALU_DEP_3) | instskip(NEXT) | instid1(VALU_DEP_1)
	v_add3_u32 v40, v39, v40, 0x7ffff
	v_and_b32_e32 v40, 0xfff00000, v40
	s_delay_alu instid0(VALU_DEP_1) | instskip(NEXT) | instid1(VALU_DEP_1)
	v_max_u32_e32 v40, 0x3c800000, v40
	v_add_nc_u32_e32 v40, 0x4000000, v40
	s_delay_alu instid0(VALU_DEP_1) | instskip(SKIP_1) | instid1(VALU_DEP_1)
	v_lshrrev_b32_e32 v40, 20, v40
	s_wait_alu depctr_va_sdst(0)
	v_cndmask_b32_e64 v40, 0x7e, v40, s5
	v_cmp_lt_u32_e64 s5, 0x3c6fffff, v39
	s_wait_alu depctr_va_sdst(0)
	s_delay_alu instid0(VALU_DEP_1) | instskip(SKIP_2) | instid1(VALU_DEP_1)
	v_cndmask_b32_e64 v40, 7, v40, s5
	v_cmp_lt_u32_e64 s5, 0x3c500000, v39
	s_wait_alu depctr_va_sdst(0)
	v_cndmask_b32_e64 v40, 6, v40, s5
	v_cmp_lt_u32_e64 s5, 0x3c2fffff, v39
	s_wait_alu depctr_va_sdst(0)
	s_delay_alu instid0(VALU_DEP_1) | instskip(SKIP_2) | instid1(VALU_DEP_1)
	v_cndmask_b32_e64 v40, 5, v40, s5
	v_cmp_lt_u32_e64 s5, 0x3c100000, v39
	;; [unrolled: 7-line block ×4, first 2 shown]
	s_wait_alu depctr_va_sdst(0)
	v_cndmask_b32_e64 v39, 0, v40, s5
	v_cmp_o_f32_e64 s5, v29, v29
	s_wait_alu depctr_va_sdst(0)
	s_delay_alu instid0(VALU_DEP_1) | instskip(SKIP_3) | instid1(VALU_DEP_3)
	v_cndmask_b32_e64 v29, 0x7f, v39, s5
	.loc	1 68 56                         ; persistent_matmul.py:68:56
	v_add_co_u32 v39, s5, v44, v28
	s_wait_alu depctr_va_sdst(0)
	v_add_co_ci_u32_e64 v40, null, v45, v38, s5
	.loc	1 71 31                         ; persistent_matmul.py:71:31
	v_or_b32_e32 v29, v29, v41
	.loc	1 74 25                         ; persistent_matmul.py:74:25
	global_store_b8 v[39:40], v29, off
.LBB0_217:
	.loc	1 0 25 is_stmt 0                ; persistent_matmul.py:0:25
	s_wait_alu depctr_sa_sdst(0)
	s_or_b32 exec_lo, exec_lo, s6
	.loc	1 67 41 is_stmt 1               ; persistent_matmul.py:67:41
	v_or_b32_e32 v39, s17, v57
	s_delay_alu instid0(VALU_DEP_1)
	.loc	1 68 68                         ; persistent_matmul.py:68:68
	v_mul_lo_u32 v29, v39, s19
	.loc	1 69 62                         ; persistent_matmul.py:69:62
	v_cmp_gt_i32_e64 s5, s23, v39
	.loc	1 69 43 is_stmt 0               ; persistent_matmul.py:69:43
	s_and_b32 s6, s10, s5
	.loc	1 68 56 is_stmt 1               ; persistent_matmul.py:68:56
	v_ashrrev_i32_e32 v39, 31, v29
	.loc	1 74 25                         ; persistent_matmul.py:74:25
	s_wait_alu depctr_sa_sdst(0)
	s_and_saveexec_b32 s7, s6
	s_cbranch_execz .LBB0_219
; %bb.218:
	.loc	1 71 31                         ; persistent_matmul.py:71:31
	v_and_b32_e32 v40, 0x7fffffff, v30
	v_lshrrev_b32_e32 v42, 24, v30
	s_delay_alu instid0(VALU_DEP_2) | instskip(SKIP_1) | instid1(VALU_DEP_3)
	v_bfe_u32 v41, v40, 20, 1
	v_cmp_gt_u32_e64 s6, 0x43e80000, v40
	v_and_b32_e32 v42, 0x80, v42
	s_delay_alu instid0(VALU_DEP_3) | instskip(NEXT) | instid1(VALU_DEP_1)
	v_add3_u32 v41, v40, v41, 0x7ffff
	v_and_b32_e32 v41, 0xfff00000, v41
	s_delay_alu instid0(VALU_DEP_1) | instskip(NEXT) | instid1(VALU_DEP_1)
	v_max_u32_e32 v41, 0x3c800000, v41
	v_add_nc_u32_e32 v41, 0x4000000, v41
	s_delay_alu instid0(VALU_DEP_1) | instskip(SKIP_1) | instid1(VALU_DEP_1)
	v_lshrrev_b32_e32 v41, 20, v41
	s_wait_alu depctr_va_sdst(0)
	v_cndmask_b32_e64 v41, 0x7e, v41, s6
	v_cmp_lt_u32_e64 s6, 0x3c6fffff, v40
	s_wait_alu depctr_va_sdst(0)
	s_delay_alu instid0(VALU_DEP_1) | instskip(SKIP_2) | instid1(VALU_DEP_1)
	v_cndmask_b32_e64 v41, 7, v41, s6
	v_cmp_lt_u32_e64 s6, 0x3c500000, v40
	s_wait_alu depctr_va_sdst(0)
	v_cndmask_b32_e64 v41, 6, v41, s6
	v_cmp_lt_u32_e64 s6, 0x3c2fffff, v40
	s_wait_alu depctr_va_sdst(0)
	s_delay_alu instid0(VALU_DEP_1) | instskip(SKIP_2) | instid1(VALU_DEP_1)
	v_cndmask_b32_e64 v41, 5, v41, s6
	v_cmp_lt_u32_e64 s6, 0x3c100000, v40
	;; [unrolled: 7-line block ×4, first 2 shown]
	s_wait_alu depctr_va_sdst(0)
	v_cndmask_b32_e64 v40, 0, v41, s6
	v_cmp_o_f32_e64 s6, v30, v30
	s_wait_alu depctr_va_sdst(0)
	s_delay_alu instid0(VALU_DEP_1) | instskip(SKIP_3) | instid1(VALU_DEP_3)
	v_cndmask_b32_e64 v30, 0x7f, v40, s6
	.loc	1 68 56                         ; persistent_matmul.py:68:56
	v_add_co_u32 v40, s6, v44, v29
	s_wait_alu depctr_va_sdst(0)
	v_add_co_ci_u32_e64 v41, null, v45, v39, s6
	.loc	1 71 31                         ; persistent_matmul.py:71:31
	v_or_b32_e32 v30, v30, v42
	.loc	1 74 25                         ; persistent_matmul.py:74:25
	global_store_b8 v[40:41], v30, off
.LBB0_219:
	.loc	1 0 25 is_stmt 0                ; persistent_matmul.py:0:25
	s_wait_alu depctr_sa_sdst(0)
	s_or_b32 exec_lo, exec_lo, s7
	.loc	1 67 41 is_stmt 1               ; persistent_matmul.py:67:41
	v_or_b32_e32 v40, s17, v58
	s_delay_alu instid0(VALU_DEP_1)
	.loc	1 68 68                         ; persistent_matmul.py:68:68
	v_mul_lo_u32 v30, v40, s19
	.loc	1 69 62                         ; persistent_matmul.py:69:62
	v_cmp_gt_i32_e64 s6, s23, v40
	.loc	1 69 43 is_stmt 0               ; persistent_matmul.py:69:43
	s_and_b32 s7, s10, s6
	.loc	1 68 56 is_stmt 1               ; persistent_matmul.py:68:56
	v_ashrrev_i32_e32 v40, 31, v30
	.loc	1 74 25                         ; persistent_matmul.py:74:25
	s_wait_alu depctr_sa_sdst(0)
	s_and_saveexec_b32 s8, s7
	s_cbranch_execz .LBB0_221
; %bb.220:
	.loc	1 71 31                         ; persistent_matmul.py:71:31
	v_and_b32_e32 v41, 0x7fffffff, v31
	v_lshrrev_b32_e32 v43, 24, v31
	s_delay_alu instid0(VALU_DEP_2) | instskip(SKIP_1) | instid1(VALU_DEP_3)
	v_bfe_u32 v42, v41, 20, 1
	v_cmp_gt_u32_e64 s7, 0x43e80000, v41
	v_and_b32_e32 v43, 0x80, v43
	s_delay_alu instid0(VALU_DEP_3) | instskip(NEXT) | instid1(VALU_DEP_1)
	v_add3_u32 v42, v41, v42, 0x7ffff
	v_and_b32_e32 v42, 0xfff00000, v42
	s_delay_alu instid0(VALU_DEP_1) | instskip(NEXT) | instid1(VALU_DEP_1)
	v_max_u32_e32 v42, 0x3c800000, v42
	v_add_nc_u32_e32 v42, 0x4000000, v42
	s_delay_alu instid0(VALU_DEP_1) | instskip(SKIP_1) | instid1(VALU_DEP_1)
	v_lshrrev_b32_e32 v42, 20, v42
	s_wait_alu depctr_va_sdst(0)
	v_cndmask_b32_e64 v42, 0x7e, v42, s7
	v_cmp_lt_u32_e64 s7, 0x3c6fffff, v41
	s_wait_alu depctr_va_sdst(0)
	s_delay_alu instid0(VALU_DEP_1) | instskip(SKIP_2) | instid1(VALU_DEP_1)
	v_cndmask_b32_e64 v42, 7, v42, s7
	v_cmp_lt_u32_e64 s7, 0x3c500000, v41
	s_wait_alu depctr_va_sdst(0)
	v_cndmask_b32_e64 v42, 6, v42, s7
	v_cmp_lt_u32_e64 s7, 0x3c2fffff, v41
	s_wait_alu depctr_va_sdst(0)
	s_delay_alu instid0(VALU_DEP_1) | instskip(SKIP_2) | instid1(VALU_DEP_1)
	v_cndmask_b32_e64 v42, 5, v42, s7
	v_cmp_lt_u32_e64 s7, 0x3c100000, v41
	;; [unrolled: 7-line block ×4, first 2 shown]
	s_wait_alu depctr_va_sdst(0)
	v_cndmask_b32_e64 v41, 0, v42, s7
	v_cmp_o_f32_e64 s7, v31, v31
	s_wait_alu depctr_va_sdst(0)
	s_delay_alu instid0(VALU_DEP_1) | instskip(SKIP_3) | instid1(VALU_DEP_3)
	v_cndmask_b32_e64 v31, 0x7f, v41, s7
	.loc	1 68 56                         ; persistent_matmul.py:68:56
	v_add_co_u32 v41, s7, v44, v30
	s_wait_alu depctr_va_sdst(0)
	v_add_co_ci_u32_e64 v42, null, v45, v40, s7
	.loc	1 71 31                         ; persistent_matmul.py:71:31
	v_or_b32_e32 v31, v31, v43
	.loc	1 74 25                         ; persistent_matmul.py:74:25
	global_store_b8 v[41:42], v31, off
.LBB0_221:
	.loc	1 0 25 is_stmt 0                ; persistent_matmul.py:0:25
	s_wait_alu depctr_sa_sdst(0)
	s_or_b32 exec_lo, exec_lo, s8
	.loc	1 67 41 is_stmt 1               ; persistent_matmul.py:67:41
	v_or_b32_e32 v41, s17, v59
	s_delay_alu instid0(VALU_DEP_1)
	.loc	1 68 68                         ; persistent_matmul.py:68:68
	v_mul_lo_u32 v31, v41, s19
	.loc	1 69 62                         ; persistent_matmul.py:69:62
	v_cmp_gt_i32_e64 s7, s23, v41
	.loc	1 69 43 is_stmt 0               ; persistent_matmul.py:69:43
	s_and_b32 s8, s10, s7
	.loc	1 68 56 is_stmt 1               ; persistent_matmul.py:68:56
	v_ashrrev_i32_e32 v41, 31, v31
	.loc	1 74 25                         ; persistent_matmul.py:74:25
	s_wait_alu depctr_sa_sdst(0)
	s_and_saveexec_b32 s9, s8
	s_cbranch_execz .LBB0_223
; %bb.222:
	.loc	1 71 31                         ; persistent_matmul.py:71:31
	v_and_b32_e32 v42, 0x7fffffff, v16
	v_lshrrev_b32_e32 v46, 24, v16
	s_delay_alu instid0(VALU_DEP_2) | instskip(SKIP_1) | instid1(VALU_DEP_3)
	v_bfe_u32 v43, v42, 20, 1
	v_cmp_gt_u32_e64 s8, 0x43e80000, v42
	v_and_b32_e32 v46, 0x80, v46
	s_delay_alu instid0(VALU_DEP_3) | instskip(NEXT) | instid1(VALU_DEP_1)
	v_add3_u32 v43, v42, v43, 0x7ffff
	v_and_b32_e32 v43, 0xfff00000, v43
	s_delay_alu instid0(VALU_DEP_1) | instskip(NEXT) | instid1(VALU_DEP_1)
	v_max_u32_e32 v43, 0x3c800000, v43
	v_add_nc_u32_e32 v43, 0x4000000, v43
	s_delay_alu instid0(VALU_DEP_1) | instskip(SKIP_1) | instid1(VALU_DEP_1)
	v_lshrrev_b32_e32 v43, 20, v43
	s_wait_alu depctr_va_sdst(0)
	v_cndmask_b32_e64 v43, 0x7e, v43, s8
	v_cmp_lt_u32_e64 s8, 0x3c6fffff, v42
	s_wait_alu depctr_va_sdst(0)
	s_delay_alu instid0(VALU_DEP_1) | instskip(SKIP_2) | instid1(VALU_DEP_1)
	v_cndmask_b32_e64 v43, 7, v43, s8
	v_cmp_lt_u32_e64 s8, 0x3c500000, v42
	s_wait_alu depctr_va_sdst(0)
	v_cndmask_b32_e64 v43, 6, v43, s8
	v_cmp_lt_u32_e64 s8, 0x3c2fffff, v42
	s_wait_alu depctr_va_sdst(0)
	s_delay_alu instid0(VALU_DEP_1) | instskip(SKIP_2) | instid1(VALU_DEP_1)
	v_cndmask_b32_e64 v43, 5, v43, s8
	v_cmp_lt_u32_e64 s8, 0x3c100000, v42
	;; [unrolled: 7-line block ×4, first 2 shown]
	s_wait_alu depctr_va_sdst(0)
	v_cndmask_b32_e64 v42, 0, v43, s8
	v_cmp_o_f32_e64 s8, v16, v16
	s_wait_alu depctr_va_sdst(0)
	s_delay_alu instid0(VALU_DEP_1) | instskip(SKIP_3) | instid1(VALU_DEP_3)
	v_cndmask_b32_e64 v16, 0x7f, v42, s8
	.loc	1 68 56                         ; persistent_matmul.py:68:56
	v_add_co_u32 v42, s8, v44, v31
	s_wait_alu depctr_va_sdst(0)
	v_add_co_ci_u32_e64 v43, null, v45, v41, s8
	.loc	1 71 31                         ; persistent_matmul.py:71:31
	v_or_b32_e32 v16, v16, v46
	.loc	1 74 25                         ; persistent_matmul.py:74:25
	global_store_b8 v[42:43], v16, off
.LBB0_223:
	.loc	1 0 25 is_stmt 0                ; persistent_matmul.py:0:25
	s_wait_alu depctr_sa_sdst(0)
	s_or_b32 exec_lo, exec_lo, s9
	.loc	1 67 41 is_stmt 1               ; persistent_matmul.py:67:41
	v_or_b32_e32 v42, s17, v60
	s_delay_alu instid0(VALU_DEP_1)
	.loc	1 68 68                         ; persistent_matmul.py:68:68
	v_mul_lo_u32 v16, v42, s19
	.loc	1 69 62                         ; persistent_matmul.py:69:62
	v_cmp_gt_i32_e64 s8, s23, v42
	.loc	1 69 43 is_stmt 0               ; persistent_matmul.py:69:43
	s_and_b32 s9, s10, s8
	.loc	1 68 56 is_stmt 1               ; persistent_matmul.py:68:56
	v_ashrrev_i32_e32 v42, 31, v16
	.loc	1 74 25                         ; persistent_matmul.py:74:25
	s_wait_alu depctr_sa_sdst(0)
	s_and_saveexec_b32 s11, s9
	s_cbranch_execz .LBB0_225
; %bb.224:
	.loc	1 71 31                         ; persistent_matmul.py:71:31
	v_and_b32_e32 v43, 0x7fffffff, v17
	v_lshrrev_b32_e32 v47, 24, v17
	s_delay_alu instid0(VALU_DEP_2) | instskip(SKIP_1) | instid1(VALU_DEP_3)
	v_bfe_u32 v46, v43, 20, 1
	v_cmp_gt_u32_e64 s9, 0x43e80000, v43
	v_and_b32_e32 v48, 0x80, v47
	s_delay_alu instid0(VALU_DEP_3) | instskip(NEXT) | instid1(VALU_DEP_1)
	v_add3_u32 v46, v43, v46, 0x7ffff
	v_and_b32_e32 v46, 0xfff00000, v46
	s_delay_alu instid0(VALU_DEP_1) | instskip(NEXT) | instid1(VALU_DEP_1)
	v_max_u32_e32 v46, 0x3c800000, v46
	v_add_nc_u32_e32 v46, 0x4000000, v46
	s_delay_alu instid0(VALU_DEP_1) | instskip(SKIP_1) | instid1(VALU_DEP_1)
	v_lshrrev_b32_e32 v46, 20, v46
	s_wait_alu depctr_va_sdst(0)
	v_cndmask_b32_e64 v46, 0x7e, v46, s9
	v_cmp_lt_u32_e64 s9, 0x3c6fffff, v43
	s_wait_alu depctr_va_sdst(0)
	s_delay_alu instid0(VALU_DEP_1) | instskip(SKIP_2) | instid1(VALU_DEP_1)
	v_cndmask_b32_e64 v46, 7, v46, s9
	v_cmp_lt_u32_e64 s9, 0x3c500000, v43
	s_wait_alu depctr_va_sdst(0)
	v_cndmask_b32_e64 v46, 6, v46, s9
	v_cmp_lt_u32_e64 s9, 0x3c2fffff, v43
	s_wait_alu depctr_va_sdst(0)
	s_delay_alu instid0(VALU_DEP_1) | instskip(SKIP_2) | instid1(VALU_DEP_1)
	v_cndmask_b32_e64 v46, 5, v46, s9
	v_cmp_lt_u32_e64 s9, 0x3c100000, v43
	;; [unrolled: 7-line block ×4, first 2 shown]
	s_wait_alu depctr_va_sdst(0)
	v_cndmask_b32_e64 v43, 0, v46, s9
	v_cmp_o_f32_e64 s9, v17, v17
	s_wait_alu depctr_va_sdst(0)
	s_delay_alu instid0(VALU_DEP_1) | instskip(SKIP_3) | instid1(VALU_DEP_3)
	v_cndmask_b32_e64 v17, 0x7f, v43, s9
	.loc	1 68 56                         ; persistent_matmul.py:68:56
	v_add_co_u32 v46, s9, v44, v16
	s_wait_alu depctr_va_sdst(0)
	v_add_co_ci_u32_e64 v47, null, v45, v42, s9
	.loc	1 71 31                         ; persistent_matmul.py:71:31
	v_or_b32_e32 v17, v17, v48
	.loc	1 74 25                         ; persistent_matmul.py:74:25
	global_store_b8 v[46:47], v17, off
.LBB0_225:
	.loc	1 0 25 is_stmt 0                ; persistent_matmul.py:0:25
	s_wait_alu depctr_sa_sdst(0)
	s_or_b32 exec_lo, exec_lo, s11
	.loc	1 67 41 is_stmt 1               ; persistent_matmul.py:67:41
	v_or_b32_e32 v43, s17, v61
	s_delay_alu instid0(VALU_DEP_1)
	.loc	1 68 68                         ; persistent_matmul.py:68:68
	v_mul_lo_u32 v17, v43, s19
	.loc	1 69 62                         ; persistent_matmul.py:69:62
	v_cmp_gt_i32_e64 s9, s23, v43
	.loc	1 69 43 is_stmt 0               ; persistent_matmul.py:69:43
	s_and_b32 s11, s10, s9
	.loc	1 68 56 is_stmt 1               ; persistent_matmul.py:68:56
	v_ashrrev_i32_e32 v43, 31, v17
	.loc	1 74 25                         ; persistent_matmul.py:74:25
	s_wait_alu depctr_sa_sdst(0)
	s_and_saveexec_b32 s12, s11
	s_cbranch_execz .LBB0_227
; %bb.226:
	.loc	1 71 31                         ; persistent_matmul.py:71:31
	v_and_b32_e32 v46, 0x7fffffff, v18
	v_lshrrev_b32_e32 v48, 24, v18
	s_delay_alu instid0(VALU_DEP_2) | instskip(SKIP_1) | instid1(VALU_DEP_3)
	v_bfe_u32 v47, v46, 20, 1
	v_cmp_gt_u32_e64 s11, 0x43e80000, v46
	v_and_b32_e32 v48, 0x80, v48
	s_delay_alu instid0(VALU_DEP_3) | instskip(NEXT) | instid1(VALU_DEP_1)
	v_add3_u32 v47, v46, v47, 0x7ffff
	v_and_b32_e32 v47, 0xfff00000, v47
	s_delay_alu instid0(VALU_DEP_1) | instskip(NEXT) | instid1(VALU_DEP_1)
	v_max_u32_e32 v47, 0x3c800000, v47
	v_add_nc_u32_e32 v47, 0x4000000, v47
	s_delay_alu instid0(VALU_DEP_1) | instskip(SKIP_1) | instid1(VALU_DEP_1)
	v_lshrrev_b32_e32 v47, 20, v47
	s_wait_alu depctr_va_sdst(0)
	v_cndmask_b32_e64 v47, 0x7e, v47, s11
	v_cmp_lt_u32_e64 s11, 0x3c6fffff, v46
	s_wait_alu depctr_va_sdst(0)
	s_delay_alu instid0(VALU_DEP_1) | instskip(SKIP_2) | instid1(VALU_DEP_1)
	v_cndmask_b32_e64 v47, 7, v47, s11
	v_cmp_lt_u32_e64 s11, 0x3c500000, v46
	s_wait_alu depctr_va_sdst(0)
	v_cndmask_b32_e64 v47, 6, v47, s11
	v_cmp_lt_u32_e64 s11, 0x3c2fffff, v46
	s_wait_alu depctr_va_sdst(0)
	s_delay_alu instid0(VALU_DEP_1) | instskip(SKIP_2) | instid1(VALU_DEP_1)
	v_cndmask_b32_e64 v47, 5, v47, s11
	v_cmp_lt_u32_e64 s11, 0x3c100000, v46
	;; [unrolled: 7-line block ×4, first 2 shown]
	s_wait_alu depctr_va_sdst(0)
	v_cndmask_b32_e64 v46, 0, v47, s11
	v_cmp_o_f32_e64 s11, v18, v18
	s_wait_alu depctr_va_sdst(0)
	s_delay_alu instid0(VALU_DEP_1) | instskip(SKIP_3) | instid1(VALU_DEP_3)
	v_cndmask_b32_e64 v18, 0x7f, v46, s11
	.loc	1 68 56                         ; persistent_matmul.py:68:56
	v_add_co_u32 v46, s11, v44, v17
	s_wait_alu depctr_va_sdst(0)
	v_add_co_ci_u32_e64 v47, null, v45, v43, s11
	.loc	1 71 31                         ; persistent_matmul.py:71:31
	v_or_b32_e32 v18, v18, v48
	.loc	1 74 25                         ; persistent_matmul.py:74:25
	global_store_b8 v[46:47], v18, off
.LBB0_227:
	.loc	1 0 25 is_stmt 0                ; persistent_matmul.py:0:25
	s_wait_alu depctr_sa_sdst(0)
	s_or_b32 exec_lo, exec_lo, s12
	.loc	1 67 41 is_stmt 1               ; persistent_matmul.py:67:41
	v_or_b32_e32 v46, s17, v62
	s_delay_alu instid0(VALU_DEP_1)
	.loc	1 68 68                         ; persistent_matmul.py:68:68
	v_mul_lo_u32 v18, v46, s19
	.loc	1 69 62                         ; persistent_matmul.py:69:62
	v_cmp_gt_i32_e64 s11, s23, v46
	.loc	1 69 43 is_stmt 0               ; persistent_matmul.py:69:43
	s_and_b32 s12, s10, s11
	.loc	1 68 56 is_stmt 1               ; persistent_matmul.py:68:56
	v_ashrrev_i32_e32 v46, 31, v18
	.loc	1 74 25                         ; persistent_matmul.py:74:25
	s_wait_alu depctr_sa_sdst(0)
	s_and_saveexec_b32 s13, s12
	s_cbranch_execz .LBB0_229
; %bb.228:
	.loc	1 71 31                         ; persistent_matmul.py:71:31
	v_and_b32_e32 v47, 0x7fffffff, v19
	v_lshrrev_b32_e32 v67, 24, v19
	s_delay_alu instid0(VALU_DEP_2) | instskip(SKIP_1) | instid1(VALU_DEP_3)
	v_bfe_u32 v48, v47, 20, 1
	v_cmp_gt_u32_e64 s12, 0x43e80000, v47
	v_and_b32_e32 v67, 0x80, v67
	s_delay_alu instid0(VALU_DEP_3) | instskip(NEXT) | instid1(VALU_DEP_1)
	v_add3_u32 v48, v47, v48, 0x7ffff
	v_and_b32_e32 v48, 0xfff00000, v48
	s_delay_alu instid0(VALU_DEP_1) | instskip(NEXT) | instid1(VALU_DEP_1)
	v_max_u32_e32 v48, 0x3c800000, v48
	v_add_nc_u32_e32 v48, 0x4000000, v48
	s_delay_alu instid0(VALU_DEP_1) | instskip(SKIP_1) | instid1(VALU_DEP_1)
	v_lshrrev_b32_e32 v48, 20, v48
	s_wait_alu depctr_va_sdst(0)
	v_cndmask_b32_e64 v48, 0x7e, v48, s12
	v_cmp_lt_u32_e64 s12, 0x3c6fffff, v47
	s_wait_alu depctr_va_sdst(0)
	s_delay_alu instid0(VALU_DEP_1) | instskip(SKIP_2) | instid1(VALU_DEP_1)
	v_cndmask_b32_e64 v48, 7, v48, s12
	v_cmp_lt_u32_e64 s12, 0x3c500000, v47
	s_wait_alu depctr_va_sdst(0)
	v_cndmask_b32_e64 v48, 6, v48, s12
	v_cmp_lt_u32_e64 s12, 0x3c2fffff, v47
	s_wait_alu depctr_va_sdst(0)
	s_delay_alu instid0(VALU_DEP_1) | instskip(SKIP_2) | instid1(VALU_DEP_1)
	v_cndmask_b32_e64 v48, 5, v48, s12
	v_cmp_lt_u32_e64 s12, 0x3c100000, v47
	;; [unrolled: 7-line block ×4, first 2 shown]
	s_wait_alu depctr_va_sdst(0)
	v_cndmask_b32_e64 v47, 0, v48, s12
	v_cmp_o_f32_e64 s12, v19, v19
	s_wait_alu depctr_va_sdst(0)
	s_delay_alu instid0(VALU_DEP_1) | instskip(SKIP_3) | instid1(VALU_DEP_3)
	v_cndmask_b32_e64 v19, 0x7f, v47, s12
	.loc	1 68 56                         ; persistent_matmul.py:68:56
	v_add_co_u32 v47, s12, v44, v18
	s_wait_alu depctr_va_sdst(0)
	v_add_co_ci_u32_e64 v48, null, v45, v46, s12
	.loc	1 71 31                         ; persistent_matmul.py:71:31
	v_or_b32_e32 v19, v19, v67
	.loc	1 74 25                         ; persistent_matmul.py:74:25
	global_store_b8 v[47:48], v19, off
.LBB0_229:
	.loc	1 0 25 is_stmt 0                ; persistent_matmul.py:0:25
	s_wait_alu depctr_sa_sdst(0)
	s_or_b32 exec_lo, exec_lo, s13
	.loc	1 67 41 is_stmt 1               ; persistent_matmul.py:67:41
	v_or_b32_e32 v47, s17, v63
	s_delay_alu instid0(VALU_DEP_1)
	.loc	1 68 68                         ; persistent_matmul.py:68:68
	v_mul_lo_u32 v19, v47, s19
	.loc	1 69 62                         ; persistent_matmul.py:69:62
	v_cmp_gt_i32_e64 s12, s23, v47
	.loc	1 69 43 is_stmt 0               ; persistent_matmul.py:69:43
	s_and_b32 s13, s10, s12
	.loc	1 68 56 is_stmt 1               ; persistent_matmul.py:68:56
	v_ashrrev_i32_e32 v47, 31, v19
	.loc	1 74 25                         ; persistent_matmul.py:74:25
	s_wait_alu depctr_sa_sdst(0)
	s_and_saveexec_b32 s14, s13
	s_cbranch_execz .LBB0_231
; %bb.230:
	.loc	1 71 31                         ; persistent_matmul.py:71:31
	v_and_b32_e32 v48, 0x7fffffff, v20
	v_lshrrev_b32_e32 v68, 24, v20
	s_delay_alu instid0(VALU_DEP_2) | instskip(SKIP_1) | instid1(VALU_DEP_3)
	v_bfe_u32 v67, v48, 20, 1
	v_cmp_gt_u32_e64 s13, 0x43e80000, v48
	v_and_b32_e32 v69, 0x80, v68
	s_delay_alu instid0(VALU_DEP_3) | instskip(NEXT) | instid1(VALU_DEP_1)
	v_add3_u32 v67, v48, v67, 0x7ffff
	v_and_b32_e32 v67, 0xfff00000, v67
	s_delay_alu instid0(VALU_DEP_1) | instskip(NEXT) | instid1(VALU_DEP_1)
	v_max_u32_e32 v67, 0x3c800000, v67
	v_add_nc_u32_e32 v67, 0x4000000, v67
	s_delay_alu instid0(VALU_DEP_1) | instskip(SKIP_1) | instid1(VALU_DEP_1)
	v_lshrrev_b32_e32 v67, 20, v67
	s_wait_alu depctr_va_sdst(0)
	v_cndmask_b32_e64 v67, 0x7e, v67, s13
	v_cmp_lt_u32_e64 s13, 0x3c6fffff, v48
	s_wait_alu depctr_va_sdst(0)
	s_delay_alu instid0(VALU_DEP_1) | instskip(SKIP_2) | instid1(VALU_DEP_1)
	v_cndmask_b32_e64 v67, 7, v67, s13
	v_cmp_lt_u32_e64 s13, 0x3c500000, v48
	s_wait_alu depctr_va_sdst(0)
	v_cndmask_b32_e64 v67, 6, v67, s13
	v_cmp_lt_u32_e64 s13, 0x3c2fffff, v48
	s_wait_alu depctr_va_sdst(0)
	s_delay_alu instid0(VALU_DEP_1) | instskip(SKIP_2) | instid1(VALU_DEP_1)
	v_cndmask_b32_e64 v67, 5, v67, s13
	v_cmp_lt_u32_e64 s13, 0x3c100000, v48
	;; [unrolled: 7-line block ×4, first 2 shown]
	s_wait_alu depctr_va_sdst(0)
	v_cndmask_b32_e64 v48, 0, v67, s13
	v_cmp_o_f32_e64 s13, v20, v20
	s_wait_alu depctr_va_sdst(0)
	s_delay_alu instid0(VALU_DEP_1) | instskip(SKIP_3) | instid1(VALU_DEP_3)
	v_cndmask_b32_e64 v20, 0x7f, v48, s13
	.loc	1 68 56                         ; persistent_matmul.py:68:56
	v_add_co_u32 v67, s13, v44, v19
	s_wait_alu depctr_va_sdst(0)
	v_add_co_ci_u32_e64 v68, null, v45, v47, s13
	.loc	1 71 31                         ; persistent_matmul.py:71:31
	v_or_b32_e32 v20, v20, v69
	.loc	1 74 25                         ; persistent_matmul.py:74:25
	global_store_b8 v[67:68], v20, off
.LBB0_231:
	.loc	1 0 25 is_stmt 0                ; persistent_matmul.py:0:25
	s_wait_alu depctr_sa_sdst(0)
	s_or_b32 exec_lo, exec_lo, s14
	.loc	1 67 41 is_stmt 1               ; persistent_matmul.py:67:41
	v_or_b32_e32 v48, s17, v64
	s_delay_alu instid0(VALU_DEP_1)
	.loc	1 68 68                         ; persistent_matmul.py:68:68
	v_mul_lo_u32 v20, v48, s19
	.loc	1 69 62                         ; persistent_matmul.py:69:62
	v_cmp_gt_i32_e64 s13, s23, v48
	.loc	1 69 43 is_stmt 0               ; persistent_matmul.py:69:43
	s_and_b32 s14, s10, s13
	.loc	1 68 56 is_stmt 1               ; persistent_matmul.py:68:56
	v_ashrrev_i32_e32 v48, 31, v20
	.loc	1 74 25                         ; persistent_matmul.py:74:25
	s_wait_alu depctr_sa_sdst(0)
	s_and_saveexec_b32 s15, s14
	s_cbranch_execz .LBB0_233
; %bb.232:
	.loc	1 71 31                         ; persistent_matmul.py:71:31
	v_and_b32_e32 v67, 0x7fffffff, v21
	v_lshrrev_b32_e32 v69, 24, v21
	s_delay_alu instid0(VALU_DEP_2) | instskip(SKIP_1) | instid1(VALU_DEP_3)
	v_bfe_u32 v68, v67, 20, 1
	v_cmp_gt_u32_e64 s14, 0x43e80000, v67
	v_and_b32_e32 v69, 0x80, v69
	s_delay_alu instid0(VALU_DEP_3) | instskip(NEXT) | instid1(VALU_DEP_1)
	v_add3_u32 v68, v67, v68, 0x7ffff
	v_and_b32_e32 v68, 0xfff00000, v68
	s_delay_alu instid0(VALU_DEP_1) | instskip(NEXT) | instid1(VALU_DEP_1)
	v_max_u32_e32 v68, 0x3c800000, v68
	v_add_nc_u32_e32 v68, 0x4000000, v68
	s_delay_alu instid0(VALU_DEP_1) | instskip(SKIP_1) | instid1(VALU_DEP_1)
	v_lshrrev_b32_e32 v68, 20, v68
	s_wait_alu depctr_va_sdst(0)
	v_cndmask_b32_e64 v68, 0x7e, v68, s14
	v_cmp_lt_u32_e64 s14, 0x3c6fffff, v67
	s_wait_alu depctr_va_sdst(0)
	s_delay_alu instid0(VALU_DEP_1) | instskip(SKIP_2) | instid1(VALU_DEP_1)
	v_cndmask_b32_e64 v68, 7, v68, s14
	v_cmp_lt_u32_e64 s14, 0x3c500000, v67
	s_wait_alu depctr_va_sdst(0)
	v_cndmask_b32_e64 v68, 6, v68, s14
	v_cmp_lt_u32_e64 s14, 0x3c2fffff, v67
	s_wait_alu depctr_va_sdst(0)
	s_delay_alu instid0(VALU_DEP_1) | instskip(SKIP_2) | instid1(VALU_DEP_1)
	v_cndmask_b32_e64 v68, 5, v68, s14
	v_cmp_lt_u32_e64 s14, 0x3c100000, v67
	;; [unrolled: 7-line block ×4, first 2 shown]
	s_wait_alu depctr_va_sdst(0)
	v_cndmask_b32_e64 v67, 0, v68, s14
	v_cmp_o_f32_e64 s14, v21, v21
	s_wait_alu depctr_va_sdst(0)
	s_delay_alu instid0(VALU_DEP_1) | instskip(SKIP_3) | instid1(VALU_DEP_3)
	v_cndmask_b32_e64 v21, 0x7f, v67, s14
	.loc	1 68 56                         ; persistent_matmul.py:68:56
	v_add_co_u32 v67, s14, v44, v20
	s_wait_alu depctr_va_sdst(0)
	v_add_co_ci_u32_e64 v68, null, v45, v48, s14
	.loc	1 71 31                         ; persistent_matmul.py:71:31
	v_or_b32_e32 v21, v21, v69
	.loc	1 74 25                         ; persistent_matmul.py:74:25
	global_store_b8 v[67:68], v21, off
.LBB0_233:
	.loc	1 0 25 is_stmt 0                ; persistent_matmul.py:0:25
	s_wait_alu depctr_sa_sdst(0)
	s_or_b32 exec_lo, exec_lo, s15
	.loc	1 67 41 is_stmt 1               ; persistent_matmul.py:67:41
	v_or_b32_e32 v67, s17, v65
	s_delay_alu instid0(VALU_DEP_1)
	.loc	1 68 68                         ; persistent_matmul.py:68:68
	v_mul_lo_u32 v21, v67, s19
	.loc	1 69 62                         ; persistent_matmul.py:69:62
	v_cmp_gt_i32_e64 s14, s23, v67
	.loc	1 69 43 is_stmt 0               ; persistent_matmul.py:69:43
	s_and_b32 s15, s10, s14
	.loc	1 68 56 is_stmt 1               ; persistent_matmul.py:68:56
	v_ashrrev_i32_e32 v67, 31, v21
	.loc	1 74 25                         ; persistent_matmul.py:74:25
	s_wait_alu depctr_sa_sdst(0)
	s_and_saveexec_b32 s24, s15
	s_cbranch_execz .LBB0_235
; %bb.234:
	.loc	1 71 31                         ; persistent_matmul.py:71:31
	v_and_b32_e32 v68, 0x7fffffff, v22
	v_lshrrev_b32_e32 v70, 24, v22
	s_delay_alu instid0(VALU_DEP_2) | instskip(SKIP_1) | instid1(VALU_DEP_3)
	v_bfe_u32 v69, v68, 20, 1
	v_cmp_gt_u32_e64 s15, 0x43e80000, v68
	v_and_b32_e32 v70, 0x80, v70
	s_delay_alu instid0(VALU_DEP_3) | instskip(NEXT) | instid1(VALU_DEP_1)
	v_add3_u32 v69, v68, v69, 0x7ffff
	v_and_b32_e32 v69, 0xfff00000, v69
	s_delay_alu instid0(VALU_DEP_1) | instskip(NEXT) | instid1(VALU_DEP_1)
	v_max_u32_e32 v69, 0x3c800000, v69
	v_add_nc_u32_e32 v69, 0x4000000, v69
	s_delay_alu instid0(VALU_DEP_1) | instskip(SKIP_1) | instid1(VALU_DEP_1)
	v_lshrrev_b32_e32 v69, 20, v69
	s_wait_alu depctr_va_sdst(0)
	v_cndmask_b32_e64 v69, 0x7e, v69, s15
	v_cmp_lt_u32_e64 s15, 0x3c6fffff, v68
	s_wait_alu depctr_va_sdst(0)
	s_delay_alu instid0(VALU_DEP_1) | instskip(SKIP_2) | instid1(VALU_DEP_1)
	v_cndmask_b32_e64 v69, 7, v69, s15
	v_cmp_lt_u32_e64 s15, 0x3c500000, v68
	s_wait_alu depctr_va_sdst(0)
	v_cndmask_b32_e64 v69, 6, v69, s15
	v_cmp_lt_u32_e64 s15, 0x3c2fffff, v68
	s_wait_alu depctr_va_sdst(0)
	s_delay_alu instid0(VALU_DEP_1) | instskip(SKIP_2) | instid1(VALU_DEP_1)
	v_cndmask_b32_e64 v69, 5, v69, s15
	v_cmp_lt_u32_e64 s15, 0x3c100000, v68
	;; [unrolled: 7-line block ×4, first 2 shown]
	s_wait_alu depctr_va_sdst(0)
	v_cndmask_b32_e64 v68, 0, v69, s15
	v_cmp_o_f32_e64 s15, v22, v22
	s_wait_alu depctr_va_sdst(0)
	s_delay_alu instid0(VALU_DEP_1) | instskip(SKIP_3) | instid1(VALU_DEP_3)
	v_cndmask_b32_e64 v22, 0x7f, v68, s15
	.loc	1 68 56                         ; persistent_matmul.py:68:56
	v_add_co_u32 v68, s15, v44, v21
	s_wait_alu depctr_va_sdst(0)
	v_add_co_ci_u32_e64 v69, null, v45, v67, s15
	.loc	1 71 31                         ; persistent_matmul.py:71:31
	v_or_b32_e32 v22, v22, v70
	.loc	1 74 25                         ; persistent_matmul.py:74:25
	global_store_b8 v[68:69], v22, off
.LBB0_235:
	.loc	1 0 25 is_stmt 0                ; persistent_matmul.py:0:25
	s_or_b32 exec_lo, exec_lo, s24
	.loc	1 67 41 is_stmt 1               ; persistent_matmul.py:67:41
	v_or_b32_e32 v68, s17, v66
	s_delay_alu instid0(VALU_DEP_1)
	.loc	1 68 68                         ; persistent_matmul.py:68:68
	v_mul_lo_u32 v22, v68, s19
	.loc	1 69 62                         ; persistent_matmul.py:69:62
	v_cmp_gt_i32_e64 s15, s23, v68
	.loc	1 69 43 is_stmt 0               ; persistent_matmul.py:69:43
	s_and_b32 s10, s10, s15
	.loc	1 68 56 is_stmt 1               ; persistent_matmul.py:68:56
	v_ashrrev_i32_e32 v68, 31, v22
	.loc	1 74 25                         ; persistent_matmul.py:74:25
	s_wait_alu depctr_sa_sdst(0)
	s_and_saveexec_b32 s17, s10
	s_cbranch_execz .LBB0_237
; %bb.236:
	.loc	1 71 31                         ; persistent_matmul.py:71:31
	v_and_b32_e32 v69, 0x7fffffff, v23
	v_lshrrev_b32_e32 v71, 24, v23
	s_delay_alu instid0(VALU_DEP_2) | instskip(SKIP_1) | instid1(VALU_DEP_2)
	v_bfe_u32 v70, v69, 20, 1
	v_cmp_gt_u32_e64 s10, 0x43e80000, v69
	v_add3_u32 v70, v69, v70, 0x7ffff
	s_delay_alu instid0(VALU_DEP_1) | instskip(NEXT) | instid1(VALU_DEP_1)
	v_and_b32_e32 v70, 0xfff00000, v70
	v_max_u32_e32 v70, 0x3c800000, v70
	s_delay_alu instid0(VALU_DEP_1) | instskip(NEXT) | instid1(VALU_DEP_1)
	v_add_nc_u32_e32 v70, 0x4000000, v70
	v_lshrrev_b32_e32 v70, 20, v70
	s_wait_alu depctr_va_sdst(0)
	s_delay_alu instid0(VALU_DEP_1) | instskip(SKIP_2) | instid1(VALU_DEP_1)
	v_cndmask_b32_e64 v70, 0x7e, v70, s10
	v_cmp_lt_u32_e64 s10, 0x3c6fffff, v69
	s_wait_alu depctr_va_sdst(0)
	v_cndmask_b32_e64 v70, 7, v70, s10
	v_cmp_lt_u32_e64 s10, 0x3c500000, v69
	s_wait_alu depctr_va_sdst(0)
	s_delay_alu instid0(VALU_DEP_1) | instskip(SKIP_2) | instid1(VALU_DEP_1)
	v_cndmask_b32_e64 v70, 6, v70, s10
	v_cmp_lt_u32_e64 s10, 0x3c2fffff, v69
	s_wait_alu depctr_va_sdst(0)
	v_cndmask_b32_e64 v70, 5, v70, s10
	v_cmp_lt_u32_e64 s10, 0x3c100000, v69
	;; [unrolled: 7-line block ×4, first 2 shown]
	s_wait_alu depctr_va_sdst(0)
	s_delay_alu instid0(VALU_DEP_1) | instskip(SKIP_3) | instid1(VALU_DEP_2)
	v_cndmask_b32_e64 v69, 0, v70, s10
	v_cmp_o_f32_e64 s10, v23, v23
	v_and_b32_e32 v70, 0x80, v71
	s_wait_alu depctr_va_sdst(0)
	v_cndmask_b32_e64 v23, 0x7f, v69, s10
	.loc	1 68 56                         ; persistent_matmul.py:68:56
	v_add_co_u32 v44, s10, v44, v22
	s_wait_alu depctr_va_sdst(0)
	v_add_co_ci_u32_e64 v45, null, v45, v68, s10
	s_delay_alu instid0(VALU_DEP_3)
	.loc	1 71 31                         ; persistent_matmul.py:71:31
	v_or_b32_e32 v23, v23, v70
	.loc	1 74 25                         ; persistent_matmul.py:74:25
	global_store_b8 v[44:45], v23, off
.LBB0_237:
	.loc	1 0 25 is_stmt 0                ; persistent_matmul.py:0:25
	s_wait_alu depctr_sa_sdst(0)
	s_or_b32 exec_lo, exec_lo, s17
	.loc	1 66 41 is_stmt 1               ; persistent_matmul.py:66:41
	v_or_b32_e32 v23, s16, v51
	s_delay_alu instid0(VALU_DEP_1)
	.loc	1 68 37                         ; persistent_matmul.py:68:37
	v_mul_lo_u32 v44, v23, s18
	.loc	1 69 37                         ; persistent_matmul.py:69:37
	v_cmp_gt_i32_e64 s10, s22, v23
	.loc	1 69 43 is_stmt 0               ; persistent_matmul.py:69:43
	s_and_b32 s17, s10, vcc_lo
	.loc	1 68 25 is_stmt 1               ; persistent_matmul.py:68:25
	v_ashrrev_i32_e32 v45, 31, v44
	v_add_co_u32 v23, s16, s20, v44
	s_wait_alu depctr_va_sdst(0)
	s_delay_alu instid0(VALU_DEP_2)
	v_add_co_ci_u32_e64 v44, null, s21, v45, s16
	.loc	1 74 25                         ; persistent_matmul.py:74:25
	s_wait_alu depctr_sa_sdst(0)
	s_and_saveexec_b32 s16, s17
	s_cbranch_execnz .LBB0_325
; %bb.238:
	.loc	1 0 25 is_stmt 0                ; persistent_matmul.py:0:25
	s_wait_alu depctr_sa_sdst(0)
	s_or_b32 exec_lo, exec_lo, s16
	.loc	1 69 43 is_stmt 1               ; persistent_matmul.py:69:43
	s_and_b32 s16, s10, s0
	.loc	1 74 25                         ; persistent_matmul.py:74:25
	s_wait_alu depctr_sa_sdst(0)
	s_and_saveexec_b32 s0, s16
	s_cbranch_execnz .LBB0_326
.LBB0_239:
	.loc	1 0 25 is_stmt 0                ; persistent_matmul.py:0:25
	s_wait_alu depctr_sa_sdst(0)
	s_or_b32 exec_lo, exec_lo, s0
	.loc	1 69 43 is_stmt 1               ; persistent_matmul.py:69:43
	s_and_b32 s1, s10, s1
	.loc	1 74 25                         ; persistent_matmul.py:74:25
	s_wait_alu depctr_sa_sdst(0)
	s_and_saveexec_b32 s0, s1
	s_cbranch_execnz .LBB0_327
.LBB0_240:
	.loc	1 0 25 is_stmt 0                ; persistent_matmul.py:0:25
	s_wait_alu depctr_sa_sdst(0)
	s_or_b32 exec_lo, exec_lo, s0
	.loc	1 69 43 is_stmt 1               ; persistent_matmul.py:69:43
	s_and_b32 s1, s10, s2
	.loc	1 74 25                         ; persistent_matmul.py:74:25
	s_wait_alu depctr_sa_sdst(0)
	s_and_saveexec_b32 s0, s1
	s_cbranch_execnz .LBB0_328
.LBB0_241:
	.loc	1 0 25 is_stmt 0                ; persistent_matmul.py:0:25
	s_wait_alu depctr_sa_sdst(0)
	s_or_b32 exec_lo, exec_lo, s0
	.loc	1 69 43 is_stmt 1               ; persistent_matmul.py:69:43
	s_and_b32 s1, s10, s3
	.loc	1 74 25                         ; persistent_matmul.py:74:25
	s_wait_alu depctr_sa_sdst(0)
	s_and_saveexec_b32 s0, s1
	s_cbranch_execnz .LBB0_329
.LBB0_242:
	.loc	1 0 25 is_stmt 0                ; persistent_matmul.py:0:25
	s_wait_alu depctr_sa_sdst(0)
	s_or_b32 exec_lo, exec_lo, s0
	.loc	1 69 43 is_stmt 1               ; persistent_matmul.py:69:43
	s_and_b32 s1, s10, s4
	.loc	1 74 25                         ; persistent_matmul.py:74:25
	s_wait_alu depctr_sa_sdst(0)
	s_and_saveexec_b32 s0, s1
	s_cbranch_execnz .LBB0_330
.LBB0_243:
	.loc	1 0 25 is_stmt 0                ; persistent_matmul.py:0:25
	s_wait_alu depctr_sa_sdst(0)
	s_or_b32 exec_lo, exec_lo, s0
	.loc	1 69 43 is_stmt 1               ; persistent_matmul.py:69:43
	s_and_b32 s1, s10, s5
	.loc	1 74 25                         ; persistent_matmul.py:74:25
	s_wait_alu depctr_sa_sdst(0)
	s_and_saveexec_b32 s0, s1
	s_cbranch_execnz .LBB0_331
.LBB0_244:
	.loc	1 0 25 is_stmt 0                ; persistent_matmul.py:0:25
	s_wait_alu depctr_sa_sdst(0)
	s_or_b32 exec_lo, exec_lo, s0
	.loc	1 69 43 is_stmt 1               ; persistent_matmul.py:69:43
	s_and_b32 s1, s10, s6
	.loc	1 74 25                         ; persistent_matmul.py:74:25
	s_wait_alu depctr_sa_sdst(0)
	s_and_saveexec_b32 s0, s1
	s_cbranch_execnz .LBB0_332
.LBB0_245:
	.loc	1 0 25 is_stmt 0                ; persistent_matmul.py:0:25
	s_wait_alu depctr_sa_sdst(0)
	s_or_b32 exec_lo, exec_lo, s0
	.loc	1 69 43 is_stmt 1               ; persistent_matmul.py:69:43
	s_and_b32 s1, s10, s7
	.loc	1 74 25                         ; persistent_matmul.py:74:25
	s_wait_alu depctr_sa_sdst(0)
	s_and_saveexec_b32 s0, s1
	s_cbranch_execnz .LBB0_333
.LBB0_246:
	.loc	1 0 25 is_stmt 0                ; persistent_matmul.py:0:25
	s_wait_alu depctr_sa_sdst(0)
	s_or_b32 exec_lo, exec_lo, s0
	.loc	1 69 43 is_stmt 1               ; persistent_matmul.py:69:43
	s_and_b32 s1, s10, s8
	.loc	1 74 25                         ; persistent_matmul.py:74:25
	s_wait_alu depctr_sa_sdst(0)
	s_and_saveexec_b32 s0, s1
	s_cbranch_execnz .LBB0_334
.LBB0_247:
	.loc	1 0 25 is_stmt 0                ; persistent_matmul.py:0:25
	s_wait_alu depctr_sa_sdst(0)
	s_or_b32 exec_lo, exec_lo, s0
	.loc	1 69 43 is_stmt 1               ; persistent_matmul.py:69:43
	s_and_b32 s1, s10, s9
	.loc	1 74 25                         ; persistent_matmul.py:74:25
	s_wait_alu depctr_sa_sdst(0)
	s_and_saveexec_b32 s0, s1
	s_cbranch_execnz .LBB0_335
.LBB0_248:
	.loc	1 0 25 is_stmt 0                ; persistent_matmul.py:0:25
	s_wait_alu depctr_sa_sdst(0)
	s_or_b32 exec_lo, exec_lo, s0
	.loc	1 69 43 is_stmt 1               ; persistent_matmul.py:69:43
	s_and_b32 s1, s10, s11
	.loc	1 74 25                         ; persistent_matmul.py:74:25
	s_wait_alu depctr_sa_sdst(0)
	s_and_saveexec_b32 s0, s1
	s_cbranch_execnz .LBB0_336
.LBB0_249:
	.loc	1 0 25 is_stmt 0                ; persistent_matmul.py:0:25
	s_wait_alu depctr_sa_sdst(0)
	s_or_b32 exec_lo, exec_lo, s0
	.loc	1 69 43 is_stmt 1               ; persistent_matmul.py:69:43
	s_and_b32 s1, s10, s12
	.loc	1 74 25                         ; persistent_matmul.py:74:25
	s_wait_alu depctr_sa_sdst(0)
	s_and_saveexec_b32 s0, s1
	s_cbranch_execnz .LBB0_337
.LBB0_250:
	.loc	1 0 25 is_stmt 0                ; persistent_matmul.py:0:25
	s_wait_alu depctr_sa_sdst(0)
	s_or_b32 exec_lo, exec_lo, s0
	.loc	1 69 43 is_stmt 1               ; persistent_matmul.py:69:43
	s_and_b32 s1, s10, s13
	.loc	1 74 25                         ; persistent_matmul.py:74:25
	s_wait_alu depctr_sa_sdst(0)
	s_and_saveexec_b32 s0, s1
	s_cbranch_execnz .LBB0_338
.LBB0_251:
	.loc	1 0 25 is_stmt 0                ; persistent_matmul.py:0:25
	s_wait_alu depctr_sa_sdst(0)
	s_or_b32 exec_lo, exec_lo, s0
	.loc	1 69 43 is_stmt 1               ; persistent_matmul.py:69:43
	s_and_b32 s1, s10, s14
	.loc	1 74 25                         ; persistent_matmul.py:74:25
	s_wait_alu depctr_sa_sdst(0)
	s_and_saveexec_b32 s0, s1
	s_cbranch_execnz .LBB0_339
.LBB0_252:
	.loc	1 0 25 is_stmt 0                ; persistent_matmul.py:0:25
	s_wait_alu depctr_sa_sdst(0)
	s_or_b32 exec_lo, exec_lo, s0
	.loc	1 69 43 is_stmt 1               ; persistent_matmul.py:69:43
	s_and_b32 s1, s10, s15
	.loc	1 74 25                         ; persistent_matmul.py:74:25
	s_wait_alu depctr_sa_sdst(0)
	s_and_saveexec_b32 s0, s1
	s_cbranch_execz .LBB0_254
.LBB0_253:
	.loc	1 71 31                         ; persistent_matmul.py:71:31
	v_and_b32_e32 v0, 0x7fffffff, v7
	v_lshrrev_b32_e32 v2, 24, v7
	s_delay_alu instid0(VALU_DEP_2) | instskip(SKIP_1) | instid1(VALU_DEP_3)
	v_bfe_u32 v1, v0, 20, 1
	v_cmp_gt_u32_e32 vcc_lo, 0x43e80000, v0
	v_and_b32_e32 v2, 0x80, v2
	s_delay_alu instid0(VALU_DEP_3) | instskip(NEXT) | instid1(VALU_DEP_1)
	v_add3_u32 v1, v0, v1, 0x7ffff
	v_and_b32_e32 v1, 0xfff00000, v1
	s_delay_alu instid0(VALU_DEP_1) | instskip(NEXT) | instid1(VALU_DEP_1)
	v_max_u32_e32 v1, 0x3c800000, v1
	v_add_nc_u32_e32 v1, 0x4000000, v1
	s_delay_alu instid0(VALU_DEP_1) | instskip(SKIP_1) | instid1(VALU_DEP_1)
	v_lshrrev_b32_e32 v1, 20, v1
	s_wait_alu depctr_va_vcc(0)
	v_cndmask_b32_e32 v1, 0x7e, v1, vcc_lo
	v_cmp_lt_u32_e32 vcc_lo, 0x3c6fffff, v0
	s_wait_alu depctr_va_vcc(0)
	s_delay_alu instid0(VALU_DEP_2) | instskip(SKIP_2) | instid1(VALU_DEP_2)
	v_cndmask_b32_e32 v1, 7, v1, vcc_lo
	v_cmp_lt_u32_e32 vcc_lo, 0x3c500000, v0
	s_wait_alu depctr_va_vcc(0)
	v_cndmask_b32_e32 v1, 6, v1, vcc_lo
	v_cmp_lt_u32_e32 vcc_lo, 0x3c2fffff, v0
	s_wait_alu depctr_va_vcc(0)
	s_delay_alu instid0(VALU_DEP_2) | instskip(SKIP_2) | instid1(VALU_DEP_2)
	v_cndmask_b32_e32 v1, 5, v1, vcc_lo
	v_cmp_lt_u32_e32 vcc_lo, 0x3c100000, v0
	;; [unrolled: 7-line block ×4, first 2 shown]
	s_wait_alu depctr_va_vcc(0)
	v_cndmask_b32_e32 v0, 0, v1, vcc_lo
	v_cmp_o_f32_e32 vcc_lo, v7, v7
	s_wait_alu depctr_va_vcc(0)
	s_delay_alu instid0(VALU_DEP_2) | instskip(SKIP_3) | instid1(VALU_DEP_3)
	v_cndmask_b32_e32 v3, 0x7f, v0, vcc_lo
	.loc	1 68 56                         ; persistent_matmul.py:68:56
	v_add_co_u32 v0, vcc_lo, v23, v22
	s_wait_alu depctr_va_vcc(0)
	v_add_co_ci_u32_e64 v1, null, v44, v68, vcc_lo
	.loc	1 71 31                         ; persistent_matmul.py:71:31
	v_or_b32_e32 v2, v3, v2
	.loc	1 74 25                         ; persistent_matmul.py:74:25
	global_store_b8 v[0:1], v2, off
.LBB0_254:                              ; %Flow
	.loc	1 0 25 is_stmt 0                ; persistent_matmul.py:0:25
	s_wait_alu depctr_sa_sdst(0)
	s_or_b32 exec_lo, exec_lo, s0
.LBB0_255:                              ; %Flow168
	s_mov_b32 s3, 0
.LBB0_256:                              ; %Flow174
	s_wait_alu depctr_sa_sdst(0)
	s_and_b32 vcc_lo, exec_lo, s3
	s_wait_alu depctr_sa_sdst(0)
	s_cbranch_vccz .LBB0_324
; %bb.257:                              ; %.preheader
	.loc	1 43 59 is_stmt 1               ; persistent_matmul.py:43:59
	s_cmp_le_i32 s34, ttmp9
	s_cbranch_scc1 .LBB0_324
; %bb.258:                              ; %.lr.ph9.preheader
	.loc	1 0 59 is_stmt 0                ; persistent_matmul.py:0:59
	s_abs_i32 s27, s35
	s_mov_b32 s17, 0
	s_wait_alu depctr_sa_sdst(0)
	s_cvt_f32_u32 s0, s27
	s_sub_co_i32 s1, 0, s27
	s_wait_alu depctr_sa_sdst(0)
	s_mov_b32 s26, ttmp9
	s_ashr_i32 s28, s35, 31
	v_rcp_iflag_f32_e32 v0, s0
	s_mov_b32 s25, s17
.Ltmp55:
	.loc	1 14 44 is_stmt 1               ; persistent_matmul.py:14:44 @[ persistent_matmul.py:65:90 ]
	s_sub_co_i32 s29, 0, s35
	s_delay_alu instid0(TRANS32_DEP_1) | instskip(SKIP_3) | instid1(SALU_CYCLE_2)
	v_readfirstlane_b32 s0, v0
	v_mov_b32_e32 v0, 0
	s_mul_f32 s0, s0, 0x4f7ffffe
	s_wait_alu depctr_sa_sdst(0)
	s_cvt_u32_f32 s0, s0
	s_wait_alu depctr_sa_sdst(0)
	s_delay_alu instid0(SALU_CYCLE_2)
	s_mul_i32 s1, s1, s0
	s_wait_alu depctr_sa_sdst(0)
	s_mul_hi_u32 s1, s0, s1
	s_wait_alu depctr_sa_sdst(0)
	s_add_co_i32 s24, s0, s1
	s_branch .LBB0_260
.Ltmp56:
.LBB0_259:                              ;   in Loop: Header=BB0_260 Depth=1
	.loc	1 0 44 is_stmt 0                ; persistent_matmul.py:0:44
	s_wait_alu depctr_sa_sdst(0)
	s_or_b32 exec_lo, exec_lo, s0
	.loc	1 43 59 is_stmt 1               ; persistent_matmul.py:43:59
	s_addk_co_i32 s26, 0x130
	s_wait_alu depctr_sa_sdst(0)
	s_cmp_ge_i32 s26, s34
	s_cbranch_scc1 .LBB0_324
.LBB0_260:                              ; %.lr.ph9
                                        ; =>This Inner Loop Header: Depth=1
.Ltmp57:
	.loc	1 10 26                         ; persistent_matmul.py:10:26 @[ persistent_matmul.py:65:90 ]
	s_abs_i32 s16, s26
	s_wait_alu depctr_sa_sdst(0)
	s_mul_u64 s[0:1], s[16:17], s[24:25]
	s_ashr_i32 s0, s26, 31
	s_wait_alu depctr_sa_sdst(0)
	s_mul_i32 s2, s1, s27
	s_xor_b32 s3, s0, s28
	s_wait_alu depctr_sa_sdst(0)
	s_sub_co_i32 s2, s16, s2
	s_add_co_i32 s4, s1, 1
	s_wait_alu depctr_sa_sdst(0)
	s_sub_co_i32 s5, s2, s27
	s_cmp_ge_u32 s2, s27
	s_cselect_b32 s1, s4, s1
	s_wait_alu depctr_sa_sdst(0)
	s_cselect_b32 s2, s5, s2
	s_add_co_i32 s4, s1, 1
	s_wait_alu depctr_sa_sdst(0)
	s_cmp_ge_u32 s2, s27
	s_cselect_b32 s1, s4, s1
	s_wait_alu depctr_sa_sdst(0)
	s_xor_b32 s1, s1, s3
	s_wait_alu depctr_sa_sdst(0)
	s_sub_co_i32 s1, s1, s3
	.loc	1 11 29                         ; persistent_matmul.py:11:29 @[ persistent_matmul.py:65:90 ]
	s_wait_alu depctr_sa_sdst(0)
	s_lshl_b32 s2, s1, 3
	.loc	1 14 44                         ; persistent_matmul.py:14:44 @[ persistent_matmul.py:65:90 ]
	s_mul_i32 s8, s29, s1
	.loc	1 12 35                         ; persistent_matmul.py:12:35 @[ persistent_matmul.py:65:90 ]
	s_wait_alu depctr_sa_sdst(0)
	s_sub_co_i32 s3, s33, s2
	.loc	1 14 23                         ; persistent_matmul.py:14:23 @[ persistent_matmul.py:65:90 ]
	s_mul_i32 s1, s1, s35
	.loc	1 12 48                         ; persistent_matmul.py:12:48 @[ persistent_matmul.py:65:90 ]
	s_wait_alu depctr_sa_sdst(0)
	s_min_i32 s3, s3, 8
	.loc	1 13 37                         ; persistent_matmul.py:13:37 @[ persistent_matmul.py:65:90 ]
	s_wait_alu depctr_sa_sdst(0)
	s_abs_i32 s4, s3
	s_ashr_i32 s3, s3, 31
	s_wait_alu depctr_sa_sdst(0)
	s_cvt_f32_u32 s5, s4
	s_sub_co_i32 s6, 0, s4
	s_wait_alu depctr_sa_sdst(0)
	s_delay_alu instid0(SALU_CYCLE_1) | instskip(NEXT) | instid1(TRANS32_DEP_1)
	v_rcp_iflag_f32_e32 v1, s5
	v_readfirstlane_b32 s5, v1
	s_mul_f32 s5, s5, 0x4f7ffffe
	s_wait_alu depctr_sa_sdst(0)
	s_delay_alu instid0(SALU_CYCLE_2) | instskip(SKIP_1) | instid1(SALU_CYCLE_2)
	s_cvt_u32_f32 s5, s5
	s_wait_alu depctr_sa_sdst(0)
	s_mul_i32 s6, s6, s5
	s_wait_alu depctr_sa_sdst(0)
	s_mul_hi_u32 s6, s5, s6
	s_wait_alu depctr_sa_sdst(0)
	s_add_co_i32 s5, s5, s6
	s_wait_alu depctr_sa_sdst(0)
	s_mul_hi_u32 s6, s16, s5
	s_wait_alu depctr_sa_sdst(0)
	s_mul_i32 s6, s6, s4
	s_wait_alu depctr_sa_sdst(0)
	s_sub_co_i32 s6, s16, s6
	s_wait_alu depctr_sa_sdst(0)
	s_sub_co_i32 s7, s6, s4
	s_cmp_ge_u32 s6, s4
	s_wait_alu depctr_sa_sdst(0)
	s_cselect_b32 s6, s7, s6
	s_wait_alu depctr_sa_sdst(0)
	s_sub_co_i32 s7, s6, s4
	s_cmp_ge_u32 s6, s4
	s_wait_alu depctr_sa_sdst(0)
	s_cselect_b32 s6, s7, s6
	.loc	1 14 44                         ; persistent_matmul.py:14:44 @[ persistent_matmul.py:65:90 ]
	s_add_co_i32 s7, s26, s8
	.loc	1 13 37                         ; persistent_matmul.py:13:37 @[ persistent_matmul.py:65:90 ]
	s_wait_alu depctr_sa_sdst(0)
	s_xor_b32 s6, s6, s0
	.loc	1 14 44                         ; persistent_matmul.py:14:44 @[ persistent_matmul.py:65:90 ]
	s_ashr_i32 s7, s7, 31
	.loc	1 13 37                         ; persistent_matmul.py:13:37 @[ persistent_matmul.py:65:90 ]
	s_wait_alu depctr_sa_sdst(0)
	s_sub_co_i32 s0, s6, s0
	.loc	1 14 44                         ; persistent_matmul.py:14:44 @[ persistent_matmul.py:65:90 ]
	s_sub_co_i32 s1, s7, s1
	.loc	1 13 27                         ; persistent_matmul.py:13:27 @[ persistent_matmul.py:65:90 ]
	s_wait_alu depctr_sa_sdst(0)
	s_add_co_i32 s2, s2, s0
	.loc	1 14 44                         ; persistent_matmul.py:14:44 @[ persistent_matmul.py:65:90 ]
	s_add_co_i32 s1, s26, s1
	s_xor_b32 s3, s7, s3
	s_wait_alu depctr_sa_sdst(0)
	s_xor_b32 s1, s1, s7
	s_wait_alu depctr_sa_sdst(0)
	s_mul_hi_u32 s5, s1, s5
	s_wait_alu depctr_sa_sdst(0)
	s_mul_i32 s6, s5, s4
	s_wait_alu depctr_sa_sdst(0)
	s_sub_co_i32 s0, s1, s6
	s_add_co_i32 s1, s5, 1
	s_wait_alu depctr_sa_sdst(0)
	s_sub_co_i32 s6, s0, s4
	s_cmp_ge_u32 s0, s4
	s_cselect_b32 s1, s1, s5
	s_wait_alu depctr_sa_sdst(0)
	s_cselect_b32 s0, s6, s0
	s_add_co_i32 s5, s1, 1
	s_wait_alu depctr_sa_sdst(0)
	s_cmp_ge_u32 s0, s4
	s_cselect_b32 s0, s5, s1
.Ltmp58:
	.loc	1 66 26                         ; persistent_matmul.py:66:26
	s_lshl_b32 s16, s2, 6
.Ltmp59:
	.loc	1 14 44                         ; persistent_matmul.py:14:44 @[ persistent_matmul.py:65:90 ]
	s_wait_alu depctr_sa_sdst(0)
	s_xor_b32 s0, s0, s3
.Ltmp60:
	.loc	1 66 41                         ; persistent_matmul.py:66:41
	v_or_b32_e32 v2, s16, v49
.Ltmp61:
	.loc	1 14 44                         ; persistent_matmul.py:14:44 @[ persistent_matmul.py:65:90 ]
	s_wait_alu depctr_sa_sdst(0)
	s_sub_co_i32 s0, s0, s3
.Ltmp62:
	.loc	1 67 26                         ; persistent_matmul.py:67:26
	s_wait_alu depctr_sa_sdst(0)
	s_lshl_b32 s30, s0, 6
	.loc	1 68 37                         ; persistent_matmul.py:68:37
	v_mul_lo_u32 v3, v2, s18
	.loc	1 67 41                         ; persistent_matmul.py:67:41
	s_wait_alu depctr_sa_sdst(0)
	v_or_b32_e32 v4, s30, v50
	.loc	1 69 37                         ; persistent_matmul.py:69:37
	v_cmp_gt_i32_e64 s3, s22, v2
	s_delay_alu instid0(VALU_DEP_2) | instskip(SKIP_4) | instid1(VALU_DEP_2)
	.loc	1 68 68                         ; persistent_matmul.py:68:68
	v_mul_lo_u32 v1, v4, s19
	.loc	1 69 62                         ; persistent_matmul.py:69:62
	v_cmp_gt_i32_e32 vcc_lo, s23, v4
	.loc	1 68 25                         ; persistent_matmul.py:68:25
	v_ashrrev_i32_e32 v5, 31, v3
	v_add_co_u32 v11, s0, s20, v3
	s_wait_alu depctr_va_sdst(0)
	v_add_co_ci_u32_e64 v12, null, s21, v5, s0
	.loc	1 68 56 is_stmt 0               ; persistent_matmul.py:68:56
	v_ashrrev_i32_e32 v2, 31, v1
	.loc	1 69 43 is_stmt 1               ; persistent_matmul.py:69:43
	s_and_b32 s0, s3, vcc_lo
	.loc	1 74 25                         ; persistent_matmul.py:74:25
	s_wait_alu depctr_sa_sdst(0)
	s_and_saveexec_b32 s1, s0
	s_cbranch_execz .LBB0_262
; %bb.261:                              ;   in Loop: Header=BB0_260 Depth=1
	.loc	1 0 25 is_stmt 0                ; persistent_matmul.py:0:25
	v_add_co_u32 v3, s0, v11, v1
	s_wait_alu depctr_va_sdst(0)
	v_add_co_ci_u32_e64 v4, null, v12, v2, s0
	.loc	1 74 25                         ; persistent_matmul.py:74:25
	global_store_b8 v[3:4], v0, off
.LBB0_262:                              ;   in Loop: Header=BB0_260 Depth=1
	.loc	1 0 25                          ; persistent_matmul.py:0:25
	s_wait_alu depctr_sa_sdst(0)
	s_or_b32 exec_lo, exec_lo, s1
	.loc	1 67 41 is_stmt 1               ; persistent_matmul.py:67:41
	v_or_b32_e32 v4, s30, v52
	s_delay_alu instid0(VALU_DEP_1)
	.loc	1 68 68                         ; persistent_matmul.py:68:68
	v_mul_lo_u32 v3, v4, s19
	.loc	1 69 62                         ; persistent_matmul.py:69:62
	v_cmp_gt_i32_e64 s0, s23, v4
	.loc	1 69 43 is_stmt 0               ; persistent_matmul.py:69:43
	s_and_b32 s1, s3, s0
	.loc	1 68 56 is_stmt 1               ; persistent_matmul.py:68:56
	v_ashrrev_i32_e32 v4, 31, v3
	.loc	1 74 25                         ; persistent_matmul.py:74:25
	s_wait_alu depctr_sa_sdst(0)
	s_and_saveexec_b32 s2, s1
	s_cbranch_execz .LBB0_264
; %bb.263:                              ;   in Loop: Header=BB0_260 Depth=1
	.loc	1 68 56                         ; persistent_matmul.py:68:56
	v_add_co_u32 v5, s1, v11, v3
	s_wait_alu depctr_va_sdst(0)
	v_add_co_ci_u32_e64 v6, null, v12, v4, s1
	.loc	1 74 25                         ; persistent_matmul.py:74:25
	global_store_b8 v[5:6], v0, off
.LBB0_264:                              ;   in Loop: Header=BB0_260 Depth=1
	.loc	1 0 25 is_stmt 0                ; persistent_matmul.py:0:25
	s_wait_alu depctr_sa_sdst(0)
	s_or_b32 exec_lo, exec_lo, s2
	.loc	1 67 41 is_stmt 1               ; persistent_matmul.py:67:41
	v_or_b32_e32 v6, s30, v53
	s_delay_alu instid0(VALU_DEP_1)
	.loc	1 68 68                         ; persistent_matmul.py:68:68
	v_mul_lo_u32 v5, v6, s19
	.loc	1 69 62                         ; persistent_matmul.py:69:62
	v_cmp_gt_i32_e64 s1, s23, v6
	.loc	1 69 43 is_stmt 0               ; persistent_matmul.py:69:43
	s_and_b32 s2, s3, s1
	.loc	1 68 56 is_stmt 1               ; persistent_matmul.py:68:56
	v_ashrrev_i32_e32 v6, 31, v5
	.loc	1 74 25                         ; persistent_matmul.py:74:25
	s_wait_alu depctr_sa_sdst(0)
	s_and_saveexec_b32 s4, s2
	s_cbranch_execz .LBB0_266
; %bb.265:                              ;   in Loop: Header=BB0_260 Depth=1
	.loc	1 68 56                         ; persistent_matmul.py:68:56
	v_add_co_u32 v7, s2, v11, v5
	s_wait_alu depctr_va_sdst(0)
	v_add_co_ci_u32_e64 v8, null, v12, v6, s2
	.loc	1 74 25                         ; persistent_matmul.py:74:25
	global_store_b8 v[7:8], v0, off
.LBB0_266:                              ;   in Loop: Header=BB0_260 Depth=1
	.loc	1 0 25 is_stmt 0                ; persistent_matmul.py:0:25
	;; [unrolled: 26-line block ×15, first 2 shown]
	s_wait_alu depctr_sa_sdst(0)
	s_or_b32 exec_lo, exec_lo, s30
	.loc	1 66 41 is_stmt 1               ; persistent_matmul.py:66:41
	v_or_b32_e32 v11, s16, v51
	s_delay_alu instid0(VALU_DEP_1)
	.loc	1 68 37                         ; persistent_matmul.py:68:37
	v_mul_lo_u32 v12, v11, s18
	.loc	1 69 37                         ; persistent_matmul.py:69:37
	v_cmp_gt_i32_e64 s3, s22, v11
	.loc	1 69 43 is_stmt 0               ; persistent_matmul.py:69:43
	s_and_b32 s30, s3, vcc_lo
	.loc	1 68 25 is_stmt 1               ; persistent_matmul.py:68:25
	v_ashrrev_i32_e32 v35, 31, v12
	v_add_co_u32 v11, s16, s20, v12
	s_wait_alu depctr_va_sdst(0)
	s_delay_alu instid0(VALU_DEP_2)
	v_add_co_ci_u32_e64 v12, null, s21, v35, s16
	.loc	1 74 25                         ; persistent_matmul.py:74:25
	s_wait_alu depctr_sa_sdst(0)
	s_and_saveexec_b32 s16, s30
	s_cbranch_execnz .LBB0_308
; %bb.293:                              ;   in Loop: Header=BB0_260 Depth=1
	.loc	1 0 25 is_stmt 0                ; persistent_matmul.py:0:25
	s_wait_alu depctr_sa_sdst(0)
	s_or_b32 exec_lo, exec_lo, s16
	.loc	1 69 43 is_stmt 1               ; persistent_matmul.py:69:43
	s_and_b32 s16, s3, s0
	.loc	1 74 25                         ; persistent_matmul.py:74:25
	s_wait_alu depctr_sa_sdst(0)
	s_and_saveexec_b32 s0, s16
	s_cbranch_execnz .LBB0_309
.LBB0_294:                              ;   in Loop: Header=BB0_260 Depth=1
	.loc	1 0 25 is_stmt 0                ; persistent_matmul.py:0:25
	s_wait_alu depctr_sa_sdst(0)
	s_or_b32 exec_lo, exec_lo, s0
	.loc	1 69 43 is_stmt 1               ; persistent_matmul.py:69:43
	s_and_b32 s1, s3, s1
	.loc	1 74 25                         ; persistent_matmul.py:74:25
	s_wait_alu depctr_sa_sdst(0)
	s_and_saveexec_b32 s0, s1
	s_cbranch_execnz .LBB0_310
.LBB0_295:                              ;   in Loop: Header=BB0_260 Depth=1
	.loc	1 0 25 is_stmt 0                ; persistent_matmul.py:0:25
	s_wait_alu depctr_sa_sdst(0)
	s_or_b32 exec_lo, exec_lo, s0
	.loc	1 69 43 is_stmt 1               ; persistent_matmul.py:69:43
	s_and_b32 s1, s3, s2
	.loc	1 74 25                         ; persistent_matmul.py:74:25
	s_wait_alu depctr_sa_sdst(0)
	s_and_saveexec_b32 s0, s1
	s_cbranch_execnz .LBB0_311
.LBB0_296:                              ;   in Loop: Header=BB0_260 Depth=1
	.loc	1 0 25 is_stmt 0                ; persistent_matmul.py:0:25
	s_wait_alu depctr_sa_sdst(0)
	s_or_b32 exec_lo, exec_lo, s0
	.loc	1 69 43 is_stmt 1               ; persistent_matmul.py:69:43
	s_and_b32 s1, s3, s4
	.loc	1 74 25                         ; persistent_matmul.py:74:25
	s_wait_alu depctr_sa_sdst(0)
	s_and_saveexec_b32 s0, s1
	s_cbranch_execnz .LBB0_312
.LBB0_297:                              ;   in Loop: Header=BB0_260 Depth=1
	.loc	1 0 25 is_stmt 0                ; persistent_matmul.py:0:25
	s_wait_alu depctr_sa_sdst(0)
	s_or_b32 exec_lo, exec_lo, s0
	.loc	1 69 43 is_stmt 1               ; persistent_matmul.py:69:43
	s_and_b32 s1, s3, s5
	.loc	1 74 25                         ; persistent_matmul.py:74:25
	s_wait_alu depctr_sa_sdst(0)
	s_and_saveexec_b32 s0, s1
	s_cbranch_execnz .LBB0_313
.LBB0_298:                              ;   in Loop: Header=BB0_260 Depth=1
	.loc	1 0 25 is_stmt 0                ; persistent_matmul.py:0:25
	s_wait_alu depctr_sa_sdst(0)
	s_or_b32 exec_lo, exec_lo, s0
	.loc	1 69 43 is_stmt 1               ; persistent_matmul.py:69:43
	s_and_b32 s1, s3, s6
	.loc	1 74 25                         ; persistent_matmul.py:74:25
	s_wait_alu depctr_sa_sdst(0)
	s_and_saveexec_b32 s0, s1
	s_cbranch_execnz .LBB0_314
.LBB0_299:                              ;   in Loop: Header=BB0_260 Depth=1
	.loc	1 0 25 is_stmt 0                ; persistent_matmul.py:0:25
	s_wait_alu depctr_sa_sdst(0)
	s_or_b32 exec_lo, exec_lo, s0
	.loc	1 69 43 is_stmt 1               ; persistent_matmul.py:69:43
	s_and_b32 s1, s3, s7
	.loc	1 74 25                         ; persistent_matmul.py:74:25
	s_wait_alu depctr_sa_sdst(0)
	s_and_saveexec_b32 s0, s1
	s_cbranch_execnz .LBB0_315
.LBB0_300:                              ;   in Loop: Header=BB0_260 Depth=1
	.loc	1 0 25 is_stmt 0                ; persistent_matmul.py:0:25
	s_wait_alu depctr_sa_sdst(0)
	s_or_b32 exec_lo, exec_lo, s0
	.loc	1 69 43 is_stmt 1               ; persistent_matmul.py:69:43
	s_and_b32 s1, s3, s8
	.loc	1 74 25                         ; persistent_matmul.py:74:25
	s_wait_alu depctr_sa_sdst(0)
	s_and_saveexec_b32 s0, s1
	s_cbranch_execnz .LBB0_316
.LBB0_301:                              ;   in Loop: Header=BB0_260 Depth=1
	.loc	1 0 25 is_stmt 0                ; persistent_matmul.py:0:25
	s_wait_alu depctr_sa_sdst(0)
	s_or_b32 exec_lo, exec_lo, s0
	.loc	1 69 43 is_stmt 1               ; persistent_matmul.py:69:43
	s_and_b32 s1, s3, s9
	.loc	1 74 25                         ; persistent_matmul.py:74:25
	s_wait_alu depctr_sa_sdst(0)
	s_and_saveexec_b32 s0, s1
	s_cbranch_execnz .LBB0_317
.LBB0_302:                              ;   in Loop: Header=BB0_260 Depth=1
	.loc	1 0 25 is_stmt 0                ; persistent_matmul.py:0:25
	s_wait_alu depctr_sa_sdst(0)
	s_or_b32 exec_lo, exec_lo, s0
	.loc	1 69 43 is_stmt 1               ; persistent_matmul.py:69:43
	s_and_b32 s1, s3, s10
	.loc	1 74 25                         ; persistent_matmul.py:74:25
	s_wait_alu depctr_sa_sdst(0)
	s_and_saveexec_b32 s0, s1
	s_cbranch_execnz .LBB0_318
.LBB0_303:                              ;   in Loop: Header=BB0_260 Depth=1
	.loc	1 0 25 is_stmt 0                ; persistent_matmul.py:0:25
	s_wait_alu depctr_sa_sdst(0)
	s_or_b32 exec_lo, exec_lo, s0
	.loc	1 69 43 is_stmt 1               ; persistent_matmul.py:69:43
	s_and_b32 s1, s3, s11
	.loc	1 74 25                         ; persistent_matmul.py:74:25
	s_wait_alu depctr_sa_sdst(0)
	s_and_saveexec_b32 s0, s1
	s_cbranch_execnz .LBB0_319
.LBB0_304:                              ;   in Loop: Header=BB0_260 Depth=1
	.loc	1 0 25 is_stmt 0                ; persistent_matmul.py:0:25
	s_wait_alu depctr_sa_sdst(0)
	s_or_b32 exec_lo, exec_lo, s0
	.loc	1 69 43 is_stmt 1               ; persistent_matmul.py:69:43
	s_and_b32 s1, s3, s12
	.loc	1 74 25                         ; persistent_matmul.py:74:25
	s_wait_alu depctr_sa_sdst(0)
	s_and_saveexec_b32 s0, s1
	s_cbranch_execnz .LBB0_320
.LBB0_305:                              ;   in Loop: Header=BB0_260 Depth=1
	.loc	1 0 25 is_stmt 0                ; persistent_matmul.py:0:25
	s_wait_alu depctr_sa_sdst(0)
	s_or_b32 exec_lo, exec_lo, s0
	.loc	1 69 43 is_stmt 1               ; persistent_matmul.py:69:43
	s_and_b32 s1, s3, s13
	.loc	1 74 25                         ; persistent_matmul.py:74:25
	s_wait_alu depctr_sa_sdst(0)
	s_and_saveexec_b32 s0, s1
	s_cbranch_execnz .LBB0_321
.LBB0_306:                              ;   in Loop: Header=BB0_260 Depth=1
	.loc	1 0 25 is_stmt 0                ; persistent_matmul.py:0:25
	s_wait_alu depctr_sa_sdst(0)
	s_or_b32 exec_lo, exec_lo, s0
	.loc	1 69 43 is_stmt 1               ; persistent_matmul.py:69:43
	s_and_b32 s1, s3, s14
	.loc	1 74 25                         ; persistent_matmul.py:74:25
	s_wait_alu depctr_sa_sdst(0)
	s_and_saveexec_b32 s0, s1
	s_cbranch_execnz .LBB0_322
.LBB0_307:                              ;   in Loop: Header=BB0_260 Depth=1
	.loc	1 0 25 is_stmt 0                ; persistent_matmul.py:0:25
	s_wait_alu depctr_sa_sdst(0)
	s_or_b32 exec_lo, exec_lo, s0
	.loc	1 69 43 is_stmt 1               ; persistent_matmul.py:69:43
	s_and_b32 s1, s3, s15
	.loc	1 74 25                         ; persistent_matmul.py:74:25
	s_wait_alu depctr_sa_sdst(0)
	s_and_saveexec_b32 s0, s1
	s_cbranch_execz .LBB0_259
	s_branch .LBB0_323
.LBB0_308:                              ;   in Loop: Header=BB0_260 Depth=1
	.loc	1 68 56                         ; persistent_matmul.py:68:56
	v_add_co_u32 v1, vcc_lo, v11, v1
	s_wait_alu depctr_va_vcc(0)
	v_add_co_ci_u32_e64 v2, null, v12, v2, vcc_lo
	.loc	1 74 25                         ; persistent_matmul.py:74:25
	global_store_b8 v[1:2], v0, off
	s_wait_alu depctr_sa_sdst(0)
	s_or_b32 exec_lo, exec_lo, s16
	.loc	1 69 43                         ; persistent_matmul.py:69:43
	s_and_b32 s16, s3, s0
	.loc	1 74 25                         ; persistent_matmul.py:74:25
	s_wait_alu depctr_sa_sdst(0)
	s_and_saveexec_b32 s0, s16
	s_cbranch_execz .LBB0_294
.LBB0_309:                              ;   in Loop: Header=BB0_260 Depth=1
	.loc	1 68 56                         ; persistent_matmul.py:68:56
	v_add_co_u32 v1, vcc_lo, v11, v3
	s_wait_alu depctr_va_vcc(0)
	v_add_co_ci_u32_e64 v2, null, v12, v4, vcc_lo
	.loc	1 74 25                         ; persistent_matmul.py:74:25
	global_store_b8 v[1:2], v0, off
	s_wait_alu depctr_sa_sdst(0)
	s_or_b32 exec_lo, exec_lo, s0
	.loc	1 69 43                         ; persistent_matmul.py:69:43
	s_and_b32 s1, s3, s1
	.loc	1 74 25                         ; persistent_matmul.py:74:25
	s_wait_alu depctr_sa_sdst(0)
	s_and_saveexec_b32 s0, s1
	s_cbranch_execz .LBB0_295
.LBB0_310:                              ;   in Loop: Header=BB0_260 Depth=1
	.loc	1 68 56                         ; persistent_matmul.py:68:56
	v_add_co_u32 v1, vcc_lo, v11, v5
	s_wait_alu depctr_va_vcc(0)
	v_add_co_ci_u32_e64 v2, null, v12, v6, vcc_lo
	.loc	1 74 25                         ; persistent_matmul.py:74:25
	global_store_b8 v[1:2], v0, off
	s_wait_alu depctr_sa_sdst(0)
	s_or_b32 exec_lo, exec_lo, s0
	.loc	1 69 43                         ; persistent_matmul.py:69:43
	s_and_b32 s1, s3, s2
	.loc	1 74 25                         ; persistent_matmul.py:74:25
	s_wait_alu depctr_sa_sdst(0)
	s_and_saveexec_b32 s0, s1
	s_cbranch_execz .LBB0_296
.LBB0_311:                              ;   in Loop: Header=BB0_260 Depth=1
	.loc	1 68 56                         ; persistent_matmul.py:68:56
	v_add_co_u32 v1, vcc_lo, v11, v7
	s_wait_alu depctr_va_vcc(0)
	v_add_co_ci_u32_e64 v2, null, v12, v8, vcc_lo
	.loc	1 74 25                         ; persistent_matmul.py:74:25
	global_store_b8 v[1:2], v0, off
	s_wait_alu depctr_sa_sdst(0)
	s_or_b32 exec_lo, exec_lo, s0
	.loc	1 69 43                         ; persistent_matmul.py:69:43
	s_and_b32 s1, s3, s4
	.loc	1 74 25                         ; persistent_matmul.py:74:25
	s_wait_alu depctr_sa_sdst(0)
	s_and_saveexec_b32 s0, s1
	s_cbranch_execz .LBB0_297
.LBB0_312:                              ;   in Loop: Header=BB0_260 Depth=1
	.loc	1 68 56                         ; persistent_matmul.py:68:56
	v_add_co_u32 v1, vcc_lo, v11, v9
	s_wait_alu depctr_va_vcc(0)
	v_add_co_ci_u32_e64 v2, null, v12, v10, vcc_lo
	.loc	1 74 25                         ; persistent_matmul.py:74:25
	global_store_b8 v[1:2], v0, off
	s_wait_alu depctr_sa_sdst(0)
	s_or_b32 exec_lo, exec_lo, s0
	.loc	1 69 43                         ; persistent_matmul.py:69:43
	s_and_b32 s1, s3, s5
	.loc	1 74 25                         ; persistent_matmul.py:74:25
	s_wait_alu depctr_sa_sdst(0)
	s_and_saveexec_b32 s0, s1
	s_cbranch_execz .LBB0_298
.LBB0_313:                              ;   in Loop: Header=BB0_260 Depth=1
	.loc	1 68 56                         ; persistent_matmul.py:68:56
	v_add_co_u32 v1, vcc_lo, v11, v13
	s_wait_alu depctr_va_vcc(0)
	v_add_co_ci_u32_e64 v2, null, v12, v14, vcc_lo
	.loc	1 74 25                         ; persistent_matmul.py:74:25
	global_store_b8 v[1:2], v0, off
	s_wait_alu depctr_sa_sdst(0)
	s_or_b32 exec_lo, exec_lo, s0
	.loc	1 69 43                         ; persistent_matmul.py:69:43
	s_and_b32 s1, s3, s6
	.loc	1 74 25                         ; persistent_matmul.py:74:25
	s_wait_alu depctr_sa_sdst(0)
	s_and_saveexec_b32 s0, s1
	s_cbranch_execz .LBB0_299
.LBB0_314:                              ;   in Loop: Header=BB0_260 Depth=1
	.loc	1 68 56                         ; persistent_matmul.py:68:56
	v_add_co_u32 v1, vcc_lo, v11, v15
	s_wait_alu depctr_va_vcc(0)
	v_add_co_ci_u32_e64 v2, null, v12, v16, vcc_lo
	.loc	1 74 25                         ; persistent_matmul.py:74:25
	global_store_b8 v[1:2], v0, off
	s_wait_alu depctr_sa_sdst(0)
	s_or_b32 exec_lo, exec_lo, s0
	.loc	1 69 43                         ; persistent_matmul.py:69:43
	s_and_b32 s1, s3, s7
	.loc	1 74 25                         ; persistent_matmul.py:74:25
	s_wait_alu depctr_sa_sdst(0)
	s_and_saveexec_b32 s0, s1
	s_cbranch_execz .LBB0_300
.LBB0_315:                              ;   in Loop: Header=BB0_260 Depth=1
	.loc	1 68 56                         ; persistent_matmul.py:68:56
	v_add_co_u32 v1, vcc_lo, v11, v17
	s_wait_alu depctr_va_vcc(0)
	v_add_co_ci_u32_e64 v2, null, v12, v18, vcc_lo
	.loc	1 74 25                         ; persistent_matmul.py:74:25
	global_store_b8 v[1:2], v0, off
	s_wait_alu depctr_sa_sdst(0)
	s_or_b32 exec_lo, exec_lo, s0
	.loc	1 69 43                         ; persistent_matmul.py:69:43
	s_and_b32 s1, s3, s8
	.loc	1 74 25                         ; persistent_matmul.py:74:25
	s_wait_alu depctr_sa_sdst(0)
	s_and_saveexec_b32 s0, s1
	s_cbranch_execz .LBB0_301
.LBB0_316:                              ;   in Loop: Header=BB0_260 Depth=1
	.loc	1 68 56                         ; persistent_matmul.py:68:56
	v_add_co_u32 v1, vcc_lo, v11, v19
	s_wait_alu depctr_va_vcc(0)
	v_add_co_ci_u32_e64 v2, null, v12, v20, vcc_lo
	.loc	1 74 25                         ; persistent_matmul.py:74:25
	global_store_b8 v[1:2], v0, off
	s_wait_alu depctr_sa_sdst(0)
	s_or_b32 exec_lo, exec_lo, s0
	.loc	1 69 43                         ; persistent_matmul.py:69:43
	s_and_b32 s1, s3, s9
	.loc	1 74 25                         ; persistent_matmul.py:74:25
	s_wait_alu depctr_sa_sdst(0)
	s_and_saveexec_b32 s0, s1
	s_cbranch_execz .LBB0_302
.LBB0_317:                              ;   in Loop: Header=BB0_260 Depth=1
	.loc	1 68 56                         ; persistent_matmul.py:68:56
	v_add_co_u32 v1, vcc_lo, v11, v21
	s_wait_alu depctr_va_vcc(0)
	v_add_co_ci_u32_e64 v2, null, v12, v22, vcc_lo
	.loc	1 74 25                         ; persistent_matmul.py:74:25
	global_store_b8 v[1:2], v0, off
	s_wait_alu depctr_sa_sdst(0)
	s_or_b32 exec_lo, exec_lo, s0
	.loc	1 69 43                         ; persistent_matmul.py:69:43
	s_and_b32 s1, s3, s10
	.loc	1 74 25                         ; persistent_matmul.py:74:25
	s_wait_alu depctr_sa_sdst(0)
	s_and_saveexec_b32 s0, s1
	s_cbranch_execz .LBB0_303
.LBB0_318:                              ;   in Loop: Header=BB0_260 Depth=1
	.loc	1 68 56                         ; persistent_matmul.py:68:56
	v_add_co_u32 v1, vcc_lo, v11, v23
	s_wait_alu depctr_va_vcc(0)
	v_add_co_ci_u32_e64 v2, null, v12, v24, vcc_lo
	.loc	1 74 25                         ; persistent_matmul.py:74:25
	global_store_b8 v[1:2], v0, off
	s_wait_alu depctr_sa_sdst(0)
	s_or_b32 exec_lo, exec_lo, s0
	.loc	1 69 43                         ; persistent_matmul.py:69:43
	s_and_b32 s1, s3, s11
	.loc	1 74 25                         ; persistent_matmul.py:74:25
	s_wait_alu depctr_sa_sdst(0)
	s_and_saveexec_b32 s0, s1
	s_cbranch_execz .LBB0_304
.LBB0_319:                              ;   in Loop: Header=BB0_260 Depth=1
	.loc	1 68 56                         ; persistent_matmul.py:68:56
	v_add_co_u32 v1, vcc_lo, v11, v25
	s_wait_alu depctr_va_vcc(0)
	v_add_co_ci_u32_e64 v2, null, v12, v26, vcc_lo
	.loc	1 74 25                         ; persistent_matmul.py:74:25
	global_store_b8 v[1:2], v0, off
	s_wait_alu depctr_sa_sdst(0)
	s_or_b32 exec_lo, exec_lo, s0
	.loc	1 69 43                         ; persistent_matmul.py:69:43
	s_and_b32 s1, s3, s12
	.loc	1 74 25                         ; persistent_matmul.py:74:25
	s_wait_alu depctr_sa_sdst(0)
	s_and_saveexec_b32 s0, s1
	s_cbranch_execz .LBB0_305
.LBB0_320:                              ;   in Loop: Header=BB0_260 Depth=1
	.loc	1 68 56                         ; persistent_matmul.py:68:56
	v_add_co_u32 v1, vcc_lo, v11, v27
	s_wait_alu depctr_va_vcc(0)
	v_add_co_ci_u32_e64 v2, null, v12, v28, vcc_lo
	.loc	1 74 25                         ; persistent_matmul.py:74:25
	global_store_b8 v[1:2], v0, off
	s_wait_alu depctr_sa_sdst(0)
	s_or_b32 exec_lo, exec_lo, s0
	.loc	1 69 43                         ; persistent_matmul.py:69:43
	s_and_b32 s1, s3, s13
	.loc	1 74 25                         ; persistent_matmul.py:74:25
	s_wait_alu depctr_sa_sdst(0)
	s_and_saveexec_b32 s0, s1
	s_cbranch_execz .LBB0_306
.LBB0_321:                              ;   in Loop: Header=BB0_260 Depth=1
	.loc	1 68 56                         ; persistent_matmul.py:68:56
	v_add_co_u32 v1, vcc_lo, v11, v29
	s_wait_alu depctr_va_vcc(0)
	v_add_co_ci_u32_e64 v2, null, v12, v30, vcc_lo
	.loc	1 74 25                         ; persistent_matmul.py:74:25
	global_store_b8 v[1:2], v0, off
	s_wait_alu depctr_sa_sdst(0)
	s_or_b32 exec_lo, exec_lo, s0
	.loc	1 69 43                         ; persistent_matmul.py:69:43
	s_and_b32 s1, s3, s14
	.loc	1 74 25                         ; persistent_matmul.py:74:25
	s_wait_alu depctr_sa_sdst(0)
	s_and_saveexec_b32 s0, s1
	s_cbranch_execz .LBB0_307
.LBB0_322:                              ;   in Loop: Header=BB0_260 Depth=1
	.loc	1 68 56                         ; persistent_matmul.py:68:56
	v_add_co_u32 v1, vcc_lo, v11, v31
	s_wait_alu depctr_va_vcc(0)
	v_add_co_ci_u32_e64 v2, null, v12, v32, vcc_lo
	.loc	1 74 25                         ; persistent_matmul.py:74:25
	global_store_b8 v[1:2], v0, off
	s_wait_alu depctr_sa_sdst(0)
	s_or_b32 exec_lo, exec_lo, s0
	.loc	1 69 43                         ; persistent_matmul.py:69:43
	s_and_b32 s1, s3, s15
	.loc	1 74 25                         ; persistent_matmul.py:74:25
	s_wait_alu depctr_sa_sdst(0)
	s_and_saveexec_b32 s0, s1
	s_cbranch_execz .LBB0_259
.LBB0_323:                              ;   in Loop: Header=BB0_260 Depth=1
	.loc	1 68 56                         ; persistent_matmul.py:68:56
	v_add_co_u32 v1, vcc_lo, v11, v33
	s_wait_alu depctr_va_vcc(0)
	v_add_co_ci_u32_e64 v2, null, v12, v34, vcc_lo
	.loc	1 74 25                         ; persistent_matmul.py:74:25
	global_store_b8 v[1:2], v0, off
	s_branch .LBB0_259
.LBB0_324:                              ; %.loopexit
	.loc	1 43 4                          ; persistent_matmul.py:43:4
	s_nop 0
	s_sendmsg sendmsg(MSG_DEALLOC_VGPRS)
	s_endpgm
.LBB0_325:
	.loc	1 71 31                         ; persistent_matmul.py:71:31
	v_and_b32_e32 v45, 0x7fffffff, v8
	v_lshrrev_b32_e32 v70, 24, v8
	s_delay_alu instid0(VALU_DEP_2) | instskip(SKIP_1) | instid1(VALU_DEP_2)
	v_bfe_u32 v69, v45, 20, 1
	v_cmp_gt_u32_e32 vcc_lo, 0x43e80000, v45
	v_add3_u32 v69, v45, v69, 0x7ffff
	s_delay_alu instid0(VALU_DEP_1) | instskip(NEXT) | instid1(VALU_DEP_1)
	v_and_b32_e32 v69, 0xfff00000, v69
	v_max_u32_e32 v69, 0x3c800000, v69
	s_delay_alu instid0(VALU_DEP_1) | instskip(NEXT) | instid1(VALU_DEP_1)
	v_add_nc_u32_e32 v69, 0x4000000, v69
	v_lshrrev_b32_e32 v69, 20, v69
	s_wait_alu depctr_va_vcc(0)
	s_delay_alu instid0(VALU_DEP_1) | instskip(SKIP_2) | instid1(VALU_DEP_2)
	v_cndmask_b32_e32 v69, 0x7e, v69, vcc_lo
	v_cmp_lt_u32_e32 vcc_lo, 0x3c6fffff, v45
	s_wait_alu depctr_va_vcc(0)
	v_cndmask_b32_e32 v69, 7, v69, vcc_lo
	v_cmp_lt_u32_e32 vcc_lo, 0x3c500000, v45
	s_wait_alu depctr_va_vcc(0)
	s_delay_alu instid0(VALU_DEP_2) | instskip(SKIP_2) | instid1(VALU_DEP_2)
	v_cndmask_b32_e32 v69, 6, v69, vcc_lo
	v_cmp_lt_u32_e32 vcc_lo, 0x3c2fffff, v45
	s_wait_alu depctr_va_vcc(0)
	v_cndmask_b32_e32 v69, 5, v69, vcc_lo
	v_cmp_lt_u32_e32 vcc_lo, 0x3c100000, v45
	s_wait_alu depctr_va_vcc(0)
	s_delay_alu instid0(VALU_DEP_2) | instskip(SKIP_2) | instid1(VALU_DEP_2)
	v_cndmask_b32_e32 v69, 4, v69, vcc_lo
	v_cmp_lt_u32_e32 vcc_lo, 0x3bdfffff, v45
	s_wait_alu depctr_va_vcc(0)
	v_cndmask_b32_e32 v69, 3, v69, vcc_lo
	v_cmp_lt_u32_e32 vcc_lo, 0x3ba00000, v45
	s_wait_alu depctr_va_vcc(0)
	s_delay_alu instid0(VALU_DEP_2) | instskip(SKIP_2) | instid1(VALU_DEP_2)
	v_cndmask_b32_e32 v69, 2, v69, vcc_lo
	v_cmp_lt_u32_e32 vcc_lo, 0x3b3fffff, v45
	s_wait_alu depctr_va_vcc(0)
	v_cndmask_b32_e32 v69, 1, v69, vcc_lo
	v_cmp_lt_u32_e32 vcc_lo, 0x3a800000, v45
	s_wait_alu depctr_va_vcc(0)
	s_delay_alu instid0(VALU_DEP_2) | instskip(SKIP_3) | instid1(VALU_DEP_3)
	v_cndmask_b32_e32 v45, 0, v69, vcc_lo
	v_cmp_o_f32_e32 vcc_lo, v8, v8
	v_and_b32_e32 v69, 0x80, v70
	s_wait_alu depctr_va_vcc(0)
	v_cndmask_b32_e32 v8, 0x7f, v45, vcc_lo
	.loc	1 68 56                         ; persistent_matmul.py:68:56
	v_add_co_u32 v32, vcc_lo, v23, v32
	s_wait_alu depctr_va_vcc(0)
	v_add_co_ci_u32_e64 v33, null, v44, v33, vcc_lo
	s_delay_alu instid0(VALU_DEP_3)
	.loc	1 71 31                         ; persistent_matmul.py:71:31
	v_or_b32_e32 v8, v8, v69
	.loc	1 74 25                         ; persistent_matmul.py:74:25
	global_store_b8 v[32:33], v8, off
	s_wait_alu depctr_sa_sdst(0)
	s_or_b32 exec_lo, exec_lo, s16
	.loc	1 69 43                         ; persistent_matmul.py:69:43
	s_and_b32 s16, s10, s0
	.loc	1 74 25                         ; persistent_matmul.py:74:25
	s_wait_alu depctr_sa_sdst(0)
	s_and_saveexec_b32 s0, s16
	s_cbranch_execz .LBB0_239
.LBB0_326:
	.loc	1 71 31                         ; persistent_matmul.py:71:31
	v_and_b32_e32 v8, 0x7fffffff, v9
	v_lshrrev_b32_e32 v33, 24, v9
	s_delay_alu instid0(VALU_DEP_2) | instskip(SKIP_1) | instid1(VALU_DEP_2)
	v_bfe_u32 v32, v8, 20, 1
	v_cmp_gt_u32_e32 vcc_lo, 0x43e80000, v8
	v_add3_u32 v32, v8, v32, 0x7ffff
	s_delay_alu instid0(VALU_DEP_1) | instskip(NEXT) | instid1(VALU_DEP_1)
	v_and_b32_e32 v32, 0xfff00000, v32
	v_max_u32_e32 v32, 0x3c800000, v32
	s_delay_alu instid0(VALU_DEP_1) | instskip(NEXT) | instid1(VALU_DEP_1)
	v_add_nc_u32_e32 v32, 0x4000000, v32
	v_lshrrev_b32_e32 v32, 20, v32
	s_wait_alu depctr_va_vcc(0)
	s_delay_alu instid0(VALU_DEP_1) | instskip(SKIP_2) | instid1(VALU_DEP_2)
	v_cndmask_b32_e32 v32, 0x7e, v32, vcc_lo
	v_cmp_lt_u32_e32 vcc_lo, 0x3c6fffff, v8
	s_wait_alu depctr_va_vcc(0)
	v_cndmask_b32_e32 v32, 7, v32, vcc_lo
	v_cmp_lt_u32_e32 vcc_lo, 0x3c500000, v8
	s_wait_alu depctr_va_vcc(0)
	s_delay_alu instid0(VALU_DEP_2) | instskip(SKIP_2) | instid1(VALU_DEP_2)
	v_cndmask_b32_e32 v32, 6, v32, vcc_lo
	v_cmp_lt_u32_e32 vcc_lo, 0x3c2fffff, v8
	s_wait_alu depctr_va_vcc(0)
	v_cndmask_b32_e32 v32, 5, v32, vcc_lo
	v_cmp_lt_u32_e32 vcc_lo, 0x3c100000, v8
	s_wait_alu depctr_va_vcc(0)
	s_delay_alu instid0(VALU_DEP_2) | instskip(SKIP_2) | instid1(VALU_DEP_2)
	;; [unrolled: 7-line block ×3, first 2 shown]
	v_cndmask_b32_e32 v32, 2, v32, vcc_lo
	v_cmp_lt_u32_e32 vcc_lo, 0x3b3fffff, v8
	s_wait_alu depctr_va_vcc(0)
	v_cndmask_b32_e32 v32, 1, v32, vcc_lo
	v_cmp_lt_u32_e32 vcc_lo, 0x3a800000, v8
	s_wait_alu depctr_va_vcc(0)
	s_delay_alu instid0(VALU_DEP_2) | instskip(SKIP_3) | instid1(VALU_DEP_3)
	v_cndmask_b32_e32 v8, 0, v32, vcc_lo
	v_cmp_o_f32_e32 vcc_lo, v9, v9
	v_and_b32_e32 v32, 0x80, v33
	s_wait_alu depctr_va_vcc(0)
	v_cndmask_b32_e32 v33, 0x7f, v8, vcc_lo
	.loc	1 68 56                         ; persistent_matmul.py:68:56
	v_add_co_u32 v8, vcc_lo, v23, v24
	s_wait_alu depctr_va_vcc(0)
	v_add_co_ci_u32_e64 v9, null, v44, v34, vcc_lo
	s_delay_alu instid0(VALU_DEP_3)
	.loc	1 71 31                         ; persistent_matmul.py:71:31
	v_or_b32_e32 v24, v33, v32
	.loc	1 74 25                         ; persistent_matmul.py:74:25
	global_store_b8 v[8:9], v24, off
	s_wait_alu depctr_sa_sdst(0)
	s_or_b32 exec_lo, exec_lo, s0
	.loc	1 69 43                         ; persistent_matmul.py:69:43
	s_and_b32 s1, s10, s1
	.loc	1 74 25                         ; persistent_matmul.py:74:25
	s_wait_alu depctr_sa_sdst(0)
	s_and_saveexec_b32 s0, s1
	s_cbranch_execz .LBB0_240
.LBB0_327:
	.loc	1 71 31                         ; persistent_matmul.py:71:31
	v_and_b32_e32 v8, 0x7fffffff, v10
	v_lshrrev_b32_e32 v24, 24, v10
	s_delay_alu instid0(VALU_DEP_2) | instskip(SKIP_1) | instid1(VALU_DEP_3)
	v_bfe_u32 v9, v8, 20, 1
	v_cmp_gt_u32_e32 vcc_lo, 0x43e80000, v8
	v_and_b32_e32 v24, 0x80, v24
	s_delay_alu instid0(VALU_DEP_3) | instskip(NEXT) | instid1(VALU_DEP_1)
	v_add3_u32 v9, v8, v9, 0x7ffff
	v_and_b32_e32 v9, 0xfff00000, v9
	s_delay_alu instid0(VALU_DEP_1) | instskip(NEXT) | instid1(VALU_DEP_1)
	v_max_u32_e32 v9, 0x3c800000, v9
	v_add_nc_u32_e32 v9, 0x4000000, v9
	s_delay_alu instid0(VALU_DEP_1) | instskip(SKIP_1) | instid1(VALU_DEP_1)
	v_lshrrev_b32_e32 v9, 20, v9
	s_wait_alu depctr_va_vcc(0)
	v_cndmask_b32_e32 v9, 0x7e, v9, vcc_lo
	v_cmp_lt_u32_e32 vcc_lo, 0x3c6fffff, v8
	s_wait_alu depctr_va_vcc(0)
	s_delay_alu instid0(VALU_DEP_2) | instskip(SKIP_2) | instid1(VALU_DEP_2)
	v_cndmask_b32_e32 v9, 7, v9, vcc_lo
	v_cmp_lt_u32_e32 vcc_lo, 0x3c500000, v8
	s_wait_alu depctr_va_vcc(0)
	v_cndmask_b32_e32 v9, 6, v9, vcc_lo
	v_cmp_lt_u32_e32 vcc_lo, 0x3c2fffff, v8
	s_wait_alu depctr_va_vcc(0)
	s_delay_alu instid0(VALU_DEP_2) | instskip(SKIP_2) | instid1(VALU_DEP_2)
	v_cndmask_b32_e32 v9, 5, v9, vcc_lo
	v_cmp_lt_u32_e32 vcc_lo, 0x3c100000, v8
	;; [unrolled: 7-line block ×4, first 2 shown]
	s_wait_alu depctr_va_vcc(0)
	v_cndmask_b32_e32 v8, 0, v9, vcc_lo
	v_cmp_o_f32_e32 vcc_lo, v10, v10
	s_wait_alu depctr_va_vcc(0)
	s_delay_alu instid0(VALU_DEP_2) | instskip(SKIP_3) | instid1(VALU_DEP_3)
	v_cndmask_b32_e32 v10, 0x7f, v8, vcc_lo
	.loc	1 68 56                         ; persistent_matmul.py:68:56
	v_add_co_u32 v8, vcc_lo, v23, v25
	s_wait_alu depctr_va_vcc(0)
	v_add_co_ci_u32_e64 v9, null, v44, v35, vcc_lo
	.loc	1 71 31                         ; persistent_matmul.py:71:31
	v_or_b32_e32 v10, v10, v24
	.loc	1 74 25                         ; persistent_matmul.py:74:25
	global_store_b8 v[8:9], v10, off
	s_wait_alu depctr_sa_sdst(0)
	s_or_b32 exec_lo, exec_lo, s0
	.loc	1 69 43                         ; persistent_matmul.py:69:43
	s_and_b32 s1, s10, s2
	.loc	1 74 25                         ; persistent_matmul.py:74:25
	s_wait_alu depctr_sa_sdst(0)
	s_and_saveexec_b32 s0, s1
	s_cbranch_execz .LBB0_241
.LBB0_328:
	.loc	1 71 31                         ; persistent_matmul.py:71:31
	v_and_b32_e32 v8, 0x7fffffff, v11
	v_lshrrev_b32_e32 v10, 24, v11
	s_delay_alu instid0(VALU_DEP_2) | instskip(SKIP_1) | instid1(VALU_DEP_3)
	v_bfe_u32 v9, v8, 20, 1
	v_cmp_gt_u32_e32 vcc_lo, 0x43e80000, v8
	v_and_b32_e32 v10, 0x80, v10
	s_delay_alu instid0(VALU_DEP_3) | instskip(NEXT) | instid1(VALU_DEP_1)
	v_add3_u32 v9, v8, v9, 0x7ffff
	v_and_b32_e32 v9, 0xfff00000, v9
	s_delay_alu instid0(VALU_DEP_1) | instskip(NEXT) | instid1(VALU_DEP_1)
	v_max_u32_e32 v9, 0x3c800000, v9
	v_add_nc_u32_e32 v9, 0x4000000, v9
	s_delay_alu instid0(VALU_DEP_1) | instskip(SKIP_1) | instid1(VALU_DEP_1)
	v_lshrrev_b32_e32 v9, 20, v9
	s_wait_alu depctr_va_vcc(0)
	v_cndmask_b32_e32 v9, 0x7e, v9, vcc_lo
	v_cmp_lt_u32_e32 vcc_lo, 0x3c6fffff, v8
	s_wait_alu depctr_va_vcc(0)
	s_delay_alu instid0(VALU_DEP_2) | instskip(SKIP_2) | instid1(VALU_DEP_2)
	v_cndmask_b32_e32 v9, 7, v9, vcc_lo
	v_cmp_lt_u32_e32 vcc_lo, 0x3c500000, v8
	s_wait_alu depctr_va_vcc(0)
	v_cndmask_b32_e32 v9, 6, v9, vcc_lo
	v_cmp_lt_u32_e32 vcc_lo, 0x3c2fffff, v8
	s_wait_alu depctr_va_vcc(0)
	s_delay_alu instid0(VALU_DEP_2) | instskip(SKIP_2) | instid1(VALU_DEP_2)
	v_cndmask_b32_e32 v9, 5, v9, vcc_lo
	v_cmp_lt_u32_e32 vcc_lo, 0x3c100000, v8
	;; [unrolled: 7-line block ×4, first 2 shown]
	s_wait_alu depctr_va_vcc(0)
	v_cndmask_b32_e32 v8, 0, v9, vcc_lo
	v_cmp_o_f32_e32 vcc_lo, v11, v11
	s_wait_alu depctr_va_vcc(0)
	s_delay_alu instid0(VALU_DEP_2) | instskip(SKIP_3) | instid1(VALU_DEP_3)
	v_cndmask_b32_e32 v11, 0x7f, v8, vcc_lo
	.loc	1 68 56                         ; persistent_matmul.py:68:56
	v_add_co_u32 v8, vcc_lo, v23, v26
	s_wait_alu depctr_va_vcc(0)
	v_add_co_ci_u32_e64 v9, null, v44, v36, vcc_lo
	.loc	1 71 31                         ; persistent_matmul.py:71:31
	v_or_b32_e32 v10, v11, v10
	.loc	1 74 25                         ; persistent_matmul.py:74:25
	global_store_b8 v[8:9], v10, off
	s_wait_alu depctr_sa_sdst(0)
	s_or_b32 exec_lo, exec_lo, s0
	.loc	1 69 43                         ; persistent_matmul.py:69:43
	s_and_b32 s1, s10, s3
	.loc	1 74 25                         ; persistent_matmul.py:74:25
	s_wait_alu depctr_sa_sdst(0)
	s_and_saveexec_b32 s0, s1
	s_cbranch_execz .LBB0_242
.LBB0_329:
	.loc	1 71 31                         ; persistent_matmul.py:71:31
	v_and_b32_e32 v8, 0x7fffffff, v12
	v_lshrrev_b32_e32 v10, 24, v12
	s_delay_alu instid0(VALU_DEP_2) | instskip(SKIP_1) | instid1(VALU_DEP_3)
	v_bfe_u32 v9, v8, 20, 1
	v_cmp_gt_u32_e32 vcc_lo, 0x43e80000, v8
	v_and_b32_e32 v10, 0x80, v10
	s_delay_alu instid0(VALU_DEP_3) | instskip(NEXT) | instid1(VALU_DEP_1)
	v_add3_u32 v9, v8, v9, 0x7ffff
	v_and_b32_e32 v9, 0xfff00000, v9
	s_delay_alu instid0(VALU_DEP_1) | instskip(NEXT) | instid1(VALU_DEP_1)
	v_max_u32_e32 v9, 0x3c800000, v9
	v_add_nc_u32_e32 v9, 0x4000000, v9
	s_delay_alu instid0(VALU_DEP_1) | instskip(SKIP_1) | instid1(VALU_DEP_1)
	v_lshrrev_b32_e32 v9, 20, v9
	s_wait_alu depctr_va_vcc(0)
	v_cndmask_b32_e32 v9, 0x7e, v9, vcc_lo
	v_cmp_lt_u32_e32 vcc_lo, 0x3c6fffff, v8
	s_wait_alu depctr_va_vcc(0)
	s_delay_alu instid0(VALU_DEP_2) | instskip(SKIP_2) | instid1(VALU_DEP_2)
	v_cndmask_b32_e32 v9, 7, v9, vcc_lo
	v_cmp_lt_u32_e32 vcc_lo, 0x3c500000, v8
	s_wait_alu depctr_va_vcc(0)
	v_cndmask_b32_e32 v9, 6, v9, vcc_lo
	v_cmp_lt_u32_e32 vcc_lo, 0x3c2fffff, v8
	s_wait_alu depctr_va_vcc(0)
	s_delay_alu instid0(VALU_DEP_2) | instskip(SKIP_2) | instid1(VALU_DEP_2)
	v_cndmask_b32_e32 v9, 5, v9, vcc_lo
	v_cmp_lt_u32_e32 vcc_lo, 0x3c100000, v8
	;; [unrolled: 7-line block ×4, first 2 shown]
	s_wait_alu depctr_va_vcc(0)
	v_cndmask_b32_e32 v8, 0, v9, vcc_lo
	v_cmp_o_f32_e32 vcc_lo, v12, v12
	s_wait_alu depctr_va_vcc(0)
	s_delay_alu instid0(VALU_DEP_2) | instskip(SKIP_3) | instid1(VALU_DEP_3)
	v_cndmask_b32_e32 v11, 0x7f, v8, vcc_lo
	.loc	1 68 56                         ; persistent_matmul.py:68:56
	v_add_co_u32 v8, vcc_lo, v23, v27
	s_wait_alu depctr_va_vcc(0)
	v_add_co_ci_u32_e64 v9, null, v44, v37, vcc_lo
	.loc	1 71 31                         ; persistent_matmul.py:71:31
	v_or_b32_e32 v10, v11, v10
	.loc	1 74 25                         ; persistent_matmul.py:74:25
	global_store_b8 v[8:9], v10, off
	s_wait_alu depctr_sa_sdst(0)
	s_or_b32 exec_lo, exec_lo, s0
	.loc	1 69 43                         ; persistent_matmul.py:69:43
	s_and_b32 s1, s10, s4
	.loc	1 74 25                         ; persistent_matmul.py:74:25
	s_wait_alu depctr_sa_sdst(0)
	s_and_saveexec_b32 s0, s1
	s_cbranch_execz .LBB0_243
.LBB0_330:
	.loc	1 71 31                         ; persistent_matmul.py:71:31
	v_and_b32_e32 v8, 0x7fffffff, v13
	v_lshrrev_b32_e32 v10, 24, v13
	s_delay_alu instid0(VALU_DEP_2) | instskip(SKIP_1) | instid1(VALU_DEP_3)
	v_bfe_u32 v9, v8, 20, 1
	v_cmp_gt_u32_e32 vcc_lo, 0x43e80000, v8
	v_and_b32_e32 v10, 0x80, v10
	s_delay_alu instid0(VALU_DEP_3) | instskip(NEXT) | instid1(VALU_DEP_1)
	v_add3_u32 v9, v8, v9, 0x7ffff
	v_and_b32_e32 v9, 0xfff00000, v9
	s_delay_alu instid0(VALU_DEP_1) | instskip(NEXT) | instid1(VALU_DEP_1)
	v_max_u32_e32 v9, 0x3c800000, v9
	v_add_nc_u32_e32 v9, 0x4000000, v9
	s_delay_alu instid0(VALU_DEP_1) | instskip(SKIP_1) | instid1(VALU_DEP_1)
	v_lshrrev_b32_e32 v9, 20, v9
	s_wait_alu depctr_va_vcc(0)
	v_cndmask_b32_e32 v9, 0x7e, v9, vcc_lo
	v_cmp_lt_u32_e32 vcc_lo, 0x3c6fffff, v8
	s_wait_alu depctr_va_vcc(0)
	s_delay_alu instid0(VALU_DEP_2) | instskip(SKIP_2) | instid1(VALU_DEP_2)
	v_cndmask_b32_e32 v9, 7, v9, vcc_lo
	v_cmp_lt_u32_e32 vcc_lo, 0x3c500000, v8
	s_wait_alu depctr_va_vcc(0)
	v_cndmask_b32_e32 v9, 6, v9, vcc_lo
	v_cmp_lt_u32_e32 vcc_lo, 0x3c2fffff, v8
	s_wait_alu depctr_va_vcc(0)
	s_delay_alu instid0(VALU_DEP_2) | instskip(SKIP_2) | instid1(VALU_DEP_2)
	v_cndmask_b32_e32 v9, 5, v9, vcc_lo
	v_cmp_lt_u32_e32 vcc_lo, 0x3c100000, v8
	;; [unrolled: 7-line block ×4, first 2 shown]
	s_wait_alu depctr_va_vcc(0)
	v_cndmask_b32_e32 v8, 0, v9, vcc_lo
	v_cmp_o_f32_e32 vcc_lo, v13, v13
	s_wait_alu depctr_va_vcc(0)
	s_delay_alu instid0(VALU_DEP_2) | instskip(SKIP_3) | instid1(VALU_DEP_3)
	v_cndmask_b32_e32 v11, 0x7f, v8, vcc_lo
	.loc	1 68 56                         ; persistent_matmul.py:68:56
	v_add_co_u32 v8, vcc_lo, v23, v28
	s_wait_alu depctr_va_vcc(0)
	v_add_co_ci_u32_e64 v9, null, v44, v38, vcc_lo
	.loc	1 71 31                         ; persistent_matmul.py:71:31
	v_or_b32_e32 v10, v11, v10
	.loc	1 74 25                         ; persistent_matmul.py:74:25
	global_store_b8 v[8:9], v10, off
	s_wait_alu depctr_sa_sdst(0)
	s_or_b32 exec_lo, exec_lo, s0
	.loc	1 69 43                         ; persistent_matmul.py:69:43
	s_and_b32 s1, s10, s5
	.loc	1 74 25                         ; persistent_matmul.py:74:25
	s_wait_alu depctr_sa_sdst(0)
	s_and_saveexec_b32 s0, s1
	s_cbranch_execz .LBB0_244
.LBB0_331:
	.loc	1 71 31                         ; persistent_matmul.py:71:31
	v_and_b32_e32 v8, 0x7fffffff, v14
	v_lshrrev_b32_e32 v10, 24, v14
	s_delay_alu instid0(VALU_DEP_2) | instskip(SKIP_1) | instid1(VALU_DEP_3)
	v_bfe_u32 v9, v8, 20, 1
	v_cmp_gt_u32_e32 vcc_lo, 0x43e80000, v8
	v_and_b32_e32 v10, 0x80, v10
	s_delay_alu instid0(VALU_DEP_3) | instskip(NEXT) | instid1(VALU_DEP_1)
	v_add3_u32 v9, v8, v9, 0x7ffff
	v_and_b32_e32 v9, 0xfff00000, v9
	s_delay_alu instid0(VALU_DEP_1) | instskip(NEXT) | instid1(VALU_DEP_1)
	v_max_u32_e32 v9, 0x3c800000, v9
	v_add_nc_u32_e32 v9, 0x4000000, v9
	s_delay_alu instid0(VALU_DEP_1) | instskip(SKIP_1) | instid1(VALU_DEP_1)
	v_lshrrev_b32_e32 v9, 20, v9
	s_wait_alu depctr_va_vcc(0)
	v_cndmask_b32_e32 v9, 0x7e, v9, vcc_lo
	v_cmp_lt_u32_e32 vcc_lo, 0x3c6fffff, v8
	s_wait_alu depctr_va_vcc(0)
	s_delay_alu instid0(VALU_DEP_2) | instskip(SKIP_2) | instid1(VALU_DEP_2)
	v_cndmask_b32_e32 v9, 7, v9, vcc_lo
	v_cmp_lt_u32_e32 vcc_lo, 0x3c500000, v8
	s_wait_alu depctr_va_vcc(0)
	v_cndmask_b32_e32 v9, 6, v9, vcc_lo
	v_cmp_lt_u32_e32 vcc_lo, 0x3c2fffff, v8
	s_wait_alu depctr_va_vcc(0)
	s_delay_alu instid0(VALU_DEP_2) | instskip(SKIP_2) | instid1(VALU_DEP_2)
	v_cndmask_b32_e32 v9, 5, v9, vcc_lo
	v_cmp_lt_u32_e32 vcc_lo, 0x3c100000, v8
	s_wait_alu depctr_va_vcc(0)
	v_cndmask_b32_e32 v9, 4, v9, vcc_lo
	v_cmp_lt_u32_e32 vcc_lo, 0x3bdfffff, v8
	s_wait_alu depctr_va_vcc(0)
	s_delay_alu instid0(VALU_DEP_2) | instskip(SKIP_2) | instid1(VALU_DEP_2)
	v_cndmask_b32_e32 v9, 3, v9, vcc_lo
	v_cmp_lt_u32_e32 vcc_lo, 0x3ba00000, v8
	s_wait_alu depctr_va_vcc(0)
	v_cndmask_b32_e32 v9, 2, v9, vcc_lo
	v_cmp_lt_u32_e32 vcc_lo, 0x3b3fffff, v8
	s_wait_alu depctr_va_vcc(0)
	s_delay_alu instid0(VALU_DEP_2) | instskip(SKIP_2) | instid1(VALU_DEP_2)
	v_cndmask_b32_e32 v9, 1, v9, vcc_lo
	v_cmp_lt_u32_e32 vcc_lo, 0x3a800000, v8
	s_wait_alu depctr_va_vcc(0)
	v_cndmask_b32_e32 v8, 0, v9, vcc_lo
	v_cmp_o_f32_e32 vcc_lo, v14, v14
	s_wait_alu depctr_va_vcc(0)
	s_delay_alu instid0(VALU_DEP_2) | instskip(SKIP_3) | instid1(VALU_DEP_3)
	v_cndmask_b32_e32 v11, 0x7f, v8, vcc_lo
	.loc	1 68 56                         ; persistent_matmul.py:68:56
	v_add_co_u32 v8, vcc_lo, v23, v29
	s_wait_alu depctr_va_vcc(0)
	v_add_co_ci_u32_e64 v9, null, v44, v39, vcc_lo
	.loc	1 71 31                         ; persistent_matmul.py:71:31
	v_or_b32_e32 v10, v11, v10
	.loc	1 74 25                         ; persistent_matmul.py:74:25
	global_store_b8 v[8:9], v10, off
	s_wait_alu depctr_sa_sdst(0)
	s_or_b32 exec_lo, exec_lo, s0
	.loc	1 69 43                         ; persistent_matmul.py:69:43
	s_and_b32 s1, s10, s6
	.loc	1 74 25                         ; persistent_matmul.py:74:25
	s_wait_alu depctr_sa_sdst(0)
	s_and_saveexec_b32 s0, s1
	s_cbranch_execz .LBB0_245
.LBB0_332:
	.loc	1 71 31                         ; persistent_matmul.py:71:31
	v_and_b32_e32 v8, 0x7fffffff, v15
	v_lshrrev_b32_e32 v10, 24, v15
	s_delay_alu instid0(VALU_DEP_2) | instskip(SKIP_1) | instid1(VALU_DEP_3)
	v_bfe_u32 v9, v8, 20, 1
	v_cmp_gt_u32_e32 vcc_lo, 0x43e80000, v8
	v_and_b32_e32 v10, 0x80, v10
	s_delay_alu instid0(VALU_DEP_3) | instskip(NEXT) | instid1(VALU_DEP_1)
	v_add3_u32 v9, v8, v9, 0x7ffff
	v_and_b32_e32 v9, 0xfff00000, v9
	s_delay_alu instid0(VALU_DEP_1) | instskip(NEXT) | instid1(VALU_DEP_1)
	v_max_u32_e32 v9, 0x3c800000, v9
	v_add_nc_u32_e32 v9, 0x4000000, v9
	s_delay_alu instid0(VALU_DEP_1) | instskip(SKIP_1) | instid1(VALU_DEP_1)
	v_lshrrev_b32_e32 v9, 20, v9
	s_wait_alu depctr_va_vcc(0)
	v_cndmask_b32_e32 v9, 0x7e, v9, vcc_lo
	v_cmp_lt_u32_e32 vcc_lo, 0x3c6fffff, v8
	s_wait_alu depctr_va_vcc(0)
	s_delay_alu instid0(VALU_DEP_2) | instskip(SKIP_2) | instid1(VALU_DEP_2)
	v_cndmask_b32_e32 v9, 7, v9, vcc_lo
	v_cmp_lt_u32_e32 vcc_lo, 0x3c500000, v8
	s_wait_alu depctr_va_vcc(0)
	v_cndmask_b32_e32 v9, 6, v9, vcc_lo
	v_cmp_lt_u32_e32 vcc_lo, 0x3c2fffff, v8
	s_wait_alu depctr_va_vcc(0)
	s_delay_alu instid0(VALU_DEP_2) | instskip(SKIP_2) | instid1(VALU_DEP_2)
	v_cndmask_b32_e32 v9, 5, v9, vcc_lo
	v_cmp_lt_u32_e32 vcc_lo, 0x3c100000, v8
	;; [unrolled: 7-line block ×4, first 2 shown]
	s_wait_alu depctr_va_vcc(0)
	v_cndmask_b32_e32 v8, 0, v9, vcc_lo
	v_cmp_o_f32_e32 vcc_lo, v15, v15
	s_wait_alu depctr_va_vcc(0)
	s_delay_alu instid0(VALU_DEP_2) | instskip(SKIP_3) | instid1(VALU_DEP_3)
	v_cndmask_b32_e32 v11, 0x7f, v8, vcc_lo
	.loc	1 68 56                         ; persistent_matmul.py:68:56
	v_add_co_u32 v8, vcc_lo, v23, v30
	s_wait_alu depctr_va_vcc(0)
	v_add_co_ci_u32_e64 v9, null, v44, v40, vcc_lo
	.loc	1 71 31                         ; persistent_matmul.py:71:31
	v_or_b32_e32 v10, v11, v10
	.loc	1 74 25                         ; persistent_matmul.py:74:25
	global_store_b8 v[8:9], v10, off
	s_wait_alu depctr_sa_sdst(0)
	s_or_b32 exec_lo, exec_lo, s0
	.loc	1 69 43                         ; persistent_matmul.py:69:43
	s_and_b32 s1, s10, s7
	.loc	1 74 25                         ; persistent_matmul.py:74:25
	s_wait_alu depctr_sa_sdst(0)
	s_and_saveexec_b32 s0, s1
	s_cbranch_execz .LBB0_246
.LBB0_333:
	.loc	1 71 31                         ; persistent_matmul.py:71:31
	v_and_b32_e32 v8, 0x7fffffff, v0
	v_lshrrev_b32_e32 v10, 24, v0
	s_delay_alu instid0(VALU_DEP_2) | instskip(SKIP_1) | instid1(VALU_DEP_3)
	v_bfe_u32 v9, v8, 20, 1
	v_cmp_gt_u32_e32 vcc_lo, 0x43e80000, v8
	v_and_b32_e32 v10, 0x80, v10
	s_delay_alu instid0(VALU_DEP_3) | instskip(NEXT) | instid1(VALU_DEP_1)
	v_add3_u32 v9, v8, v9, 0x7ffff
	v_and_b32_e32 v9, 0xfff00000, v9
	s_delay_alu instid0(VALU_DEP_1) | instskip(NEXT) | instid1(VALU_DEP_1)
	v_max_u32_e32 v9, 0x3c800000, v9
	v_add_nc_u32_e32 v9, 0x4000000, v9
	s_delay_alu instid0(VALU_DEP_1) | instskip(SKIP_1) | instid1(VALU_DEP_1)
	v_lshrrev_b32_e32 v9, 20, v9
	s_wait_alu depctr_va_vcc(0)
	v_cndmask_b32_e32 v9, 0x7e, v9, vcc_lo
	v_cmp_lt_u32_e32 vcc_lo, 0x3c6fffff, v8
	s_wait_alu depctr_va_vcc(0)
	s_delay_alu instid0(VALU_DEP_2) | instskip(SKIP_2) | instid1(VALU_DEP_2)
	v_cndmask_b32_e32 v9, 7, v9, vcc_lo
	v_cmp_lt_u32_e32 vcc_lo, 0x3c500000, v8
	s_wait_alu depctr_va_vcc(0)
	v_cndmask_b32_e32 v9, 6, v9, vcc_lo
	v_cmp_lt_u32_e32 vcc_lo, 0x3c2fffff, v8
	s_wait_alu depctr_va_vcc(0)
	s_delay_alu instid0(VALU_DEP_2) | instskip(SKIP_2) | instid1(VALU_DEP_2)
	v_cndmask_b32_e32 v9, 5, v9, vcc_lo
	v_cmp_lt_u32_e32 vcc_lo, 0x3c100000, v8
	;; [unrolled: 7-line block ×4, first 2 shown]
	s_wait_alu depctr_va_vcc(0)
	v_cndmask_b32_e32 v8, 0, v9, vcc_lo
	v_cmp_o_f32_e32 vcc_lo, v0, v0
	s_wait_alu depctr_va_vcc(0)
	s_delay_alu instid0(VALU_DEP_2) | instskip(SKIP_3) | instid1(VALU_DEP_3)
	v_cndmask_b32_e32 v0, 0x7f, v8, vcc_lo
	.loc	1 68 56                         ; persistent_matmul.py:68:56
	v_add_co_u32 v8, vcc_lo, v23, v31
	s_wait_alu depctr_va_vcc(0)
	v_add_co_ci_u32_e64 v9, null, v44, v41, vcc_lo
	.loc	1 71 31                         ; persistent_matmul.py:71:31
	v_or_b32_e32 v0, v0, v10
	.loc	1 74 25                         ; persistent_matmul.py:74:25
	global_store_b8 v[8:9], v0, off
	s_wait_alu depctr_sa_sdst(0)
	s_or_b32 exec_lo, exec_lo, s0
	.loc	1 69 43                         ; persistent_matmul.py:69:43
	s_and_b32 s1, s10, s8
	.loc	1 74 25                         ; persistent_matmul.py:74:25
	s_wait_alu depctr_sa_sdst(0)
	s_and_saveexec_b32 s0, s1
	s_cbranch_execz .LBB0_247
.LBB0_334:
	.loc	1 71 31                         ; persistent_matmul.py:71:31
	v_and_b32_e32 v0, 0x7fffffff, v1
	v_lshrrev_b32_e32 v9, 24, v1
	s_delay_alu instid0(VALU_DEP_2) | instskip(SKIP_1) | instid1(VALU_DEP_2)
	v_bfe_u32 v8, v0, 20, 1
	v_cmp_gt_u32_e32 vcc_lo, 0x43e80000, v0
	v_add3_u32 v8, v0, v8, 0x7ffff
	s_delay_alu instid0(VALU_DEP_1) | instskip(NEXT) | instid1(VALU_DEP_1)
	v_and_b32_e32 v8, 0xfff00000, v8
	v_max_u32_e32 v8, 0x3c800000, v8
	s_delay_alu instid0(VALU_DEP_1) | instskip(NEXT) | instid1(VALU_DEP_1)
	v_add_nc_u32_e32 v8, 0x4000000, v8
	v_lshrrev_b32_e32 v8, 20, v8
	s_wait_alu depctr_va_vcc(0)
	s_delay_alu instid0(VALU_DEP_1) | instskip(SKIP_2) | instid1(VALU_DEP_2)
	v_cndmask_b32_e32 v8, 0x7e, v8, vcc_lo
	v_cmp_lt_u32_e32 vcc_lo, 0x3c6fffff, v0
	s_wait_alu depctr_va_vcc(0)
	v_cndmask_b32_e32 v8, 7, v8, vcc_lo
	v_cmp_lt_u32_e32 vcc_lo, 0x3c500000, v0
	s_wait_alu depctr_va_vcc(0)
	s_delay_alu instid0(VALU_DEP_2) | instskip(SKIP_2) | instid1(VALU_DEP_2)
	v_cndmask_b32_e32 v8, 6, v8, vcc_lo
	v_cmp_lt_u32_e32 vcc_lo, 0x3c2fffff, v0
	s_wait_alu depctr_va_vcc(0)
	v_cndmask_b32_e32 v8, 5, v8, vcc_lo
	v_cmp_lt_u32_e32 vcc_lo, 0x3c100000, v0
	s_wait_alu depctr_va_vcc(0)
	s_delay_alu instid0(VALU_DEP_2) | instskip(SKIP_2) | instid1(VALU_DEP_2)
	;; [unrolled: 7-line block ×3, first 2 shown]
	v_cndmask_b32_e32 v8, 2, v8, vcc_lo
	v_cmp_lt_u32_e32 vcc_lo, 0x3b3fffff, v0
	s_wait_alu depctr_va_vcc(0)
	v_cndmask_b32_e32 v8, 1, v8, vcc_lo
	v_cmp_lt_u32_e32 vcc_lo, 0x3a800000, v0
	s_wait_alu depctr_va_vcc(0)
	s_delay_alu instid0(VALU_DEP_2) | instskip(SKIP_3) | instid1(VALU_DEP_3)
	v_cndmask_b32_e32 v0, 0, v8, vcc_lo
	v_cmp_o_f32_e32 vcc_lo, v1, v1
	v_and_b32_e32 v8, 0x80, v9
	s_wait_alu depctr_va_vcc(0)
	v_cndmask_b32_e32 v9, 0x7f, v0, vcc_lo
	.loc	1 68 56                         ; persistent_matmul.py:68:56
	v_add_co_u32 v0, vcc_lo, v23, v16
	s_wait_alu depctr_va_vcc(0)
	v_add_co_ci_u32_e64 v1, null, v44, v42, vcc_lo
	s_delay_alu instid0(VALU_DEP_3)
	.loc	1 71 31                         ; persistent_matmul.py:71:31
	v_or_b32_e32 v8, v9, v8
	.loc	1 74 25                         ; persistent_matmul.py:74:25
	global_store_b8 v[0:1], v8, off
	s_wait_alu depctr_sa_sdst(0)
	s_or_b32 exec_lo, exec_lo, s0
	.loc	1 69 43                         ; persistent_matmul.py:69:43
	s_and_b32 s1, s10, s9
	.loc	1 74 25                         ; persistent_matmul.py:74:25
	s_wait_alu depctr_sa_sdst(0)
	s_and_saveexec_b32 s0, s1
	s_cbranch_execz .LBB0_248
.LBB0_335:
	.loc	1 71 31                         ; persistent_matmul.py:71:31
	v_and_b32_e32 v0, 0x7fffffff, v2
	v_lshrrev_b32_e32 v8, 24, v2
	s_delay_alu instid0(VALU_DEP_2) | instskip(SKIP_1) | instid1(VALU_DEP_3)
	v_bfe_u32 v1, v0, 20, 1
	v_cmp_gt_u32_e32 vcc_lo, 0x43e80000, v0
	v_and_b32_e32 v8, 0x80, v8
	s_delay_alu instid0(VALU_DEP_3) | instskip(NEXT) | instid1(VALU_DEP_1)
	v_add3_u32 v1, v0, v1, 0x7ffff
	v_and_b32_e32 v1, 0xfff00000, v1
	s_delay_alu instid0(VALU_DEP_1) | instskip(NEXT) | instid1(VALU_DEP_1)
	v_max_u32_e32 v1, 0x3c800000, v1
	v_add_nc_u32_e32 v1, 0x4000000, v1
	s_delay_alu instid0(VALU_DEP_1) | instskip(SKIP_1) | instid1(VALU_DEP_1)
	v_lshrrev_b32_e32 v1, 20, v1
	s_wait_alu depctr_va_vcc(0)
	v_cndmask_b32_e32 v1, 0x7e, v1, vcc_lo
	v_cmp_lt_u32_e32 vcc_lo, 0x3c6fffff, v0
	s_wait_alu depctr_va_vcc(0)
	s_delay_alu instid0(VALU_DEP_2) | instskip(SKIP_2) | instid1(VALU_DEP_2)
	v_cndmask_b32_e32 v1, 7, v1, vcc_lo
	v_cmp_lt_u32_e32 vcc_lo, 0x3c500000, v0
	s_wait_alu depctr_va_vcc(0)
	v_cndmask_b32_e32 v1, 6, v1, vcc_lo
	v_cmp_lt_u32_e32 vcc_lo, 0x3c2fffff, v0
	s_wait_alu depctr_va_vcc(0)
	s_delay_alu instid0(VALU_DEP_2) | instskip(SKIP_2) | instid1(VALU_DEP_2)
	v_cndmask_b32_e32 v1, 5, v1, vcc_lo
	v_cmp_lt_u32_e32 vcc_lo, 0x3c100000, v0
	;; [unrolled: 7-line block ×4, first 2 shown]
	s_wait_alu depctr_va_vcc(0)
	v_cndmask_b32_e32 v0, 0, v1, vcc_lo
	v_cmp_o_f32_e32 vcc_lo, v2, v2
	s_wait_alu depctr_va_vcc(0)
	s_delay_alu instid0(VALU_DEP_2) | instskip(SKIP_3) | instid1(VALU_DEP_3)
	v_cndmask_b32_e32 v2, 0x7f, v0, vcc_lo
	.loc	1 68 56                         ; persistent_matmul.py:68:56
	v_add_co_u32 v0, vcc_lo, v23, v17
	s_wait_alu depctr_va_vcc(0)
	v_add_co_ci_u32_e64 v1, null, v44, v43, vcc_lo
	.loc	1 71 31                         ; persistent_matmul.py:71:31
	v_or_b32_e32 v2, v2, v8
	.loc	1 74 25                         ; persistent_matmul.py:74:25
	global_store_b8 v[0:1], v2, off
	s_wait_alu depctr_sa_sdst(0)
	s_or_b32 exec_lo, exec_lo, s0
	.loc	1 69 43                         ; persistent_matmul.py:69:43
	s_and_b32 s1, s10, s11
	.loc	1 74 25                         ; persistent_matmul.py:74:25
	s_wait_alu depctr_sa_sdst(0)
	s_and_saveexec_b32 s0, s1
	s_cbranch_execz .LBB0_249
.LBB0_336:
	.loc	1 71 31                         ; persistent_matmul.py:71:31
	v_and_b32_e32 v0, 0x7fffffff, v3
	v_lshrrev_b32_e32 v2, 24, v3
	s_delay_alu instid0(VALU_DEP_2) | instskip(SKIP_1) | instid1(VALU_DEP_3)
	v_bfe_u32 v1, v0, 20, 1
	v_cmp_gt_u32_e32 vcc_lo, 0x43e80000, v0
	v_and_b32_e32 v2, 0x80, v2
	s_delay_alu instid0(VALU_DEP_3) | instskip(NEXT) | instid1(VALU_DEP_1)
	v_add3_u32 v1, v0, v1, 0x7ffff
	v_and_b32_e32 v1, 0xfff00000, v1
	s_delay_alu instid0(VALU_DEP_1) | instskip(NEXT) | instid1(VALU_DEP_1)
	v_max_u32_e32 v1, 0x3c800000, v1
	v_add_nc_u32_e32 v1, 0x4000000, v1
	s_delay_alu instid0(VALU_DEP_1) | instskip(SKIP_1) | instid1(VALU_DEP_1)
	v_lshrrev_b32_e32 v1, 20, v1
	s_wait_alu depctr_va_vcc(0)
	v_cndmask_b32_e32 v1, 0x7e, v1, vcc_lo
	v_cmp_lt_u32_e32 vcc_lo, 0x3c6fffff, v0
	s_wait_alu depctr_va_vcc(0)
	s_delay_alu instid0(VALU_DEP_2) | instskip(SKIP_2) | instid1(VALU_DEP_2)
	v_cndmask_b32_e32 v1, 7, v1, vcc_lo
	v_cmp_lt_u32_e32 vcc_lo, 0x3c500000, v0
	s_wait_alu depctr_va_vcc(0)
	v_cndmask_b32_e32 v1, 6, v1, vcc_lo
	v_cmp_lt_u32_e32 vcc_lo, 0x3c2fffff, v0
	s_wait_alu depctr_va_vcc(0)
	s_delay_alu instid0(VALU_DEP_2) | instskip(SKIP_2) | instid1(VALU_DEP_2)
	v_cndmask_b32_e32 v1, 5, v1, vcc_lo
	v_cmp_lt_u32_e32 vcc_lo, 0x3c100000, v0
	;; [unrolled: 7-line block ×4, first 2 shown]
	s_wait_alu depctr_va_vcc(0)
	v_cndmask_b32_e32 v0, 0, v1, vcc_lo
	v_cmp_o_f32_e32 vcc_lo, v3, v3
	s_wait_alu depctr_va_vcc(0)
	s_delay_alu instid0(VALU_DEP_2) | instskip(SKIP_3) | instid1(VALU_DEP_3)
	v_cndmask_b32_e32 v3, 0x7f, v0, vcc_lo
	.loc	1 68 56                         ; persistent_matmul.py:68:56
	v_add_co_u32 v0, vcc_lo, v23, v18
	s_wait_alu depctr_va_vcc(0)
	v_add_co_ci_u32_e64 v1, null, v44, v46, vcc_lo
	.loc	1 71 31                         ; persistent_matmul.py:71:31
	v_or_b32_e32 v2, v3, v2
	.loc	1 74 25                         ; persistent_matmul.py:74:25
	global_store_b8 v[0:1], v2, off
	s_wait_alu depctr_sa_sdst(0)
	s_or_b32 exec_lo, exec_lo, s0
	.loc	1 69 43                         ; persistent_matmul.py:69:43
	s_and_b32 s1, s10, s12
	.loc	1 74 25                         ; persistent_matmul.py:74:25
	s_wait_alu depctr_sa_sdst(0)
	s_and_saveexec_b32 s0, s1
	s_cbranch_execz .LBB0_250
.LBB0_337:
	.loc	1 71 31                         ; persistent_matmul.py:71:31
	v_and_b32_e32 v0, 0x7fffffff, v4
	v_lshrrev_b32_e32 v2, 24, v4
	s_delay_alu instid0(VALU_DEP_2) | instskip(SKIP_1) | instid1(VALU_DEP_3)
	v_bfe_u32 v1, v0, 20, 1
	v_cmp_gt_u32_e32 vcc_lo, 0x43e80000, v0
	v_and_b32_e32 v2, 0x80, v2
	s_delay_alu instid0(VALU_DEP_3) | instskip(NEXT) | instid1(VALU_DEP_1)
	v_add3_u32 v1, v0, v1, 0x7ffff
	v_and_b32_e32 v1, 0xfff00000, v1
	s_delay_alu instid0(VALU_DEP_1) | instskip(NEXT) | instid1(VALU_DEP_1)
	v_max_u32_e32 v1, 0x3c800000, v1
	v_add_nc_u32_e32 v1, 0x4000000, v1
	s_delay_alu instid0(VALU_DEP_1) | instskip(SKIP_1) | instid1(VALU_DEP_1)
	v_lshrrev_b32_e32 v1, 20, v1
	s_wait_alu depctr_va_vcc(0)
	v_cndmask_b32_e32 v1, 0x7e, v1, vcc_lo
	v_cmp_lt_u32_e32 vcc_lo, 0x3c6fffff, v0
	s_wait_alu depctr_va_vcc(0)
	s_delay_alu instid0(VALU_DEP_2) | instskip(SKIP_2) | instid1(VALU_DEP_2)
	v_cndmask_b32_e32 v1, 7, v1, vcc_lo
	v_cmp_lt_u32_e32 vcc_lo, 0x3c500000, v0
	s_wait_alu depctr_va_vcc(0)
	v_cndmask_b32_e32 v1, 6, v1, vcc_lo
	v_cmp_lt_u32_e32 vcc_lo, 0x3c2fffff, v0
	s_wait_alu depctr_va_vcc(0)
	s_delay_alu instid0(VALU_DEP_2) | instskip(SKIP_2) | instid1(VALU_DEP_2)
	v_cndmask_b32_e32 v1, 5, v1, vcc_lo
	v_cmp_lt_u32_e32 vcc_lo, 0x3c100000, v0
	;; [unrolled: 7-line block ×4, first 2 shown]
	s_wait_alu depctr_va_vcc(0)
	v_cndmask_b32_e32 v0, 0, v1, vcc_lo
	v_cmp_o_f32_e32 vcc_lo, v4, v4
	s_wait_alu depctr_va_vcc(0)
	s_delay_alu instid0(VALU_DEP_2) | instskip(SKIP_3) | instid1(VALU_DEP_3)
	v_cndmask_b32_e32 v3, 0x7f, v0, vcc_lo
	.loc	1 68 56                         ; persistent_matmul.py:68:56
	v_add_co_u32 v0, vcc_lo, v23, v19
	s_wait_alu depctr_va_vcc(0)
	v_add_co_ci_u32_e64 v1, null, v44, v47, vcc_lo
	.loc	1 71 31                         ; persistent_matmul.py:71:31
	v_or_b32_e32 v2, v3, v2
	.loc	1 74 25                         ; persistent_matmul.py:74:25
	global_store_b8 v[0:1], v2, off
	s_wait_alu depctr_sa_sdst(0)
	s_or_b32 exec_lo, exec_lo, s0
	.loc	1 69 43                         ; persistent_matmul.py:69:43
	s_and_b32 s1, s10, s13
	.loc	1 74 25                         ; persistent_matmul.py:74:25
	s_wait_alu depctr_sa_sdst(0)
	s_and_saveexec_b32 s0, s1
	s_cbranch_execz .LBB0_251
.LBB0_338:
	.loc	1 71 31                         ; persistent_matmul.py:71:31
	v_and_b32_e32 v0, 0x7fffffff, v5
	v_lshrrev_b32_e32 v2, 24, v5
	s_delay_alu instid0(VALU_DEP_2) | instskip(SKIP_1) | instid1(VALU_DEP_3)
	v_bfe_u32 v1, v0, 20, 1
	v_cmp_gt_u32_e32 vcc_lo, 0x43e80000, v0
	v_and_b32_e32 v2, 0x80, v2
	s_delay_alu instid0(VALU_DEP_3) | instskip(NEXT) | instid1(VALU_DEP_1)
	v_add3_u32 v1, v0, v1, 0x7ffff
	v_and_b32_e32 v1, 0xfff00000, v1
	s_delay_alu instid0(VALU_DEP_1) | instskip(NEXT) | instid1(VALU_DEP_1)
	v_max_u32_e32 v1, 0x3c800000, v1
	v_add_nc_u32_e32 v1, 0x4000000, v1
	s_delay_alu instid0(VALU_DEP_1) | instskip(SKIP_1) | instid1(VALU_DEP_1)
	v_lshrrev_b32_e32 v1, 20, v1
	s_wait_alu depctr_va_vcc(0)
	v_cndmask_b32_e32 v1, 0x7e, v1, vcc_lo
	v_cmp_lt_u32_e32 vcc_lo, 0x3c6fffff, v0
	s_wait_alu depctr_va_vcc(0)
	s_delay_alu instid0(VALU_DEP_2) | instskip(SKIP_2) | instid1(VALU_DEP_2)
	v_cndmask_b32_e32 v1, 7, v1, vcc_lo
	v_cmp_lt_u32_e32 vcc_lo, 0x3c500000, v0
	s_wait_alu depctr_va_vcc(0)
	v_cndmask_b32_e32 v1, 6, v1, vcc_lo
	v_cmp_lt_u32_e32 vcc_lo, 0x3c2fffff, v0
	s_wait_alu depctr_va_vcc(0)
	s_delay_alu instid0(VALU_DEP_2) | instskip(SKIP_2) | instid1(VALU_DEP_2)
	v_cndmask_b32_e32 v1, 5, v1, vcc_lo
	v_cmp_lt_u32_e32 vcc_lo, 0x3c100000, v0
	;; [unrolled: 7-line block ×4, first 2 shown]
	s_wait_alu depctr_va_vcc(0)
	v_cndmask_b32_e32 v0, 0, v1, vcc_lo
	v_cmp_o_f32_e32 vcc_lo, v5, v5
	s_wait_alu depctr_va_vcc(0)
	s_delay_alu instid0(VALU_DEP_2) | instskip(SKIP_3) | instid1(VALU_DEP_3)
	v_cndmask_b32_e32 v3, 0x7f, v0, vcc_lo
	.loc	1 68 56                         ; persistent_matmul.py:68:56
	v_add_co_u32 v0, vcc_lo, v23, v20
	s_wait_alu depctr_va_vcc(0)
	v_add_co_ci_u32_e64 v1, null, v44, v48, vcc_lo
	.loc	1 71 31                         ; persistent_matmul.py:71:31
	v_or_b32_e32 v2, v3, v2
	.loc	1 74 25                         ; persistent_matmul.py:74:25
	global_store_b8 v[0:1], v2, off
	s_wait_alu depctr_sa_sdst(0)
	s_or_b32 exec_lo, exec_lo, s0
	.loc	1 69 43                         ; persistent_matmul.py:69:43
	s_and_b32 s1, s10, s14
	.loc	1 74 25                         ; persistent_matmul.py:74:25
	s_wait_alu depctr_sa_sdst(0)
	s_and_saveexec_b32 s0, s1
	s_cbranch_execz .LBB0_252
.LBB0_339:
	.loc	1 71 31                         ; persistent_matmul.py:71:31
	v_and_b32_e32 v0, 0x7fffffff, v6
	v_lshrrev_b32_e32 v2, 24, v6
	s_delay_alu instid0(VALU_DEP_2) | instskip(SKIP_1) | instid1(VALU_DEP_3)
	v_bfe_u32 v1, v0, 20, 1
	v_cmp_gt_u32_e32 vcc_lo, 0x43e80000, v0
	v_and_b32_e32 v2, 0x80, v2
	s_delay_alu instid0(VALU_DEP_3) | instskip(NEXT) | instid1(VALU_DEP_1)
	v_add3_u32 v1, v0, v1, 0x7ffff
	v_and_b32_e32 v1, 0xfff00000, v1
	s_delay_alu instid0(VALU_DEP_1) | instskip(NEXT) | instid1(VALU_DEP_1)
	v_max_u32_e32 v1, 0x3c800000, v1
	v_add_nc_u32_e32 v1, 0x4000000, v1
	s_delay_alu instid0(VALU_DEP_1) | instskip(SKIP_1) | instid1(VALU_DEP_1)
	v_lshrrev_b32_e32 v1, 20, v1
	s_wait_alu depctr_va_vcc(0)
	v_cndmask_b32_e32 v1, 0x7e, v1, vcc_lo
	v_cmp_lt_u32_e32 vcc_lo, 0x3c6fffff, v0
	s_wait_alu depctr_va_vcc(0)
	s_delay_alu instid0(VALU_DEP_2) | instskip(SKIP_2) | instid1(VALU_DEP_2)
	v_cndmask_b32_e32 v1, 7, v1, vcc_lo
	v_cmp_lt_u32_e32 vcc_lo, 0x3c500000, v0
	s_wait_alu depctr_va_vcc(0)
	v_cndmask_b32_e32 v1, 6, v1, vcc_lo
	v_cmp_lt_u32_e32 vcc_lo, 0x3c2fffff, v0
	s_wait_alu depctr_va_vcc(0)
	s_delay_alu instid0(VALU_DEP_2) | instskip(SKIP_2) | instid1(VALU_DEP_2)
	v_cndmask_b32_e32 v1, 5, v1, vcc_lo
	v_cmp_lt_u32_e32 vcc_lo, 0x3c100000, v0
	;; [unrolled: 7-line block ×4, first 2 shown]
	s_wait_alu depctr_va_vcc(0)
	v_cndmask_b32_e32 v0, 0, v1, vcc_lo
	v_cmp_o_f32_e32 vcc_lo, v6, v6
	s_wait_alu depctr_va_vcc(0)
	s_delay_alu instid0(VALU_DEP_2) | instskip(SKIP_3) | instid1(VALU_DEP_3)
	v_cndmask_b32_e32 v3, 0x7f, v0, vcc_lo
	.loc	1 68 56                         ; persistent_matmul.py:68:56
	v_add_co_u32 v0, vcc_lo, v23, v21
	s_wait_alu depctr_va_vcc(0)
	v_add_co_ci_u32_e64 v1, null, v44, v67, vcc_lo
	.loc	1 71 31                         ; persistent_matmul.py:71:31
	v_or_b32_e32 v2, v3, v2
	.loc	1 74 25                         ; persistent_matmul.py:74:25
	global_store_b8 v[0:1], v2, off
	s_wait_alu depctr_sa_sdst(0)
	s_or_b32 exec_lo, exec_lo, s0
	.loc	1 69 43                         ; persistent_matmul.py:69:43
	s_and_b32 s1, s10, s15
	.loc	1 74 25                         ; persistent_matmul.py:74:25
	s_wait_alu depctr_sa_sdst(0)
	s_and_saveexec_b32 s0, s1
	s_cbranch_execnz .LBB0_253
	s_branch .LBB0_254
.Ltmp63:
	.section	.rodata,"a",@progbits
	.p2align	6, 0x0
	.amdhsa_kernel matmul_kernel_persistent
		.amdhsa_group_segment_fixed_size 0
		.amdhsa_private_segment_fixed_size 0
		.amdhsa_kernarg_size 80
		.amdhsa_user_sgpr_count 2
		.amdhsa_user_sgpr_dispatch_ptr 0
		.amdhsa_user_sgpr_queue_ptr 0
		.amdhsa_user_sgpr_kernarg_segment_ptr 1
		.amdhsa_user_sgpr_dispatch_id 0
		.amdhsa_user_sgpr_private_segment_size 0
		.amdhsa_wavefront_size32 1
		.amdhsa_uses_dynamic_stack 0
		.amdhsa_enable_private_segment 0
		.amdhsa_system_sgpr_workgroup_id_x 1
		.amdhsa_system_sgpr_workgroup_id_y 1
		.amdhsa_system_sgpr_workgroup_id_z 1
		.amdhsa_system_sgpr_workgroup_info 0
		.amdhsa_system_vgpr_workitem_id 0
		.amdhsa_next_free_vgpr 131
		.amdhsa_next_free_sgpr 102
		.amdhsa_reserve_vcc 1
		.amdhsa_float_round_mode_32 0
		.amdhsa_float_round_mode_16_64 0
		.amdhsa_float_denorm_mode_32 3
		.amdhsa_float_denorm_mode_16_64 3
		.amdhsa_fp16_overflow 0
		.amdhsa_workgroup_processor_mode 1
		.amdhsa_memory_ordered 1
		.amdhsa_forward_progress 1
		.amdhsa_inst_pref_size 255
		.amdhsa_round_robin_scheduling 0
		.amdhsa_exception_fp_ieee_invalid_op 0
		.amdhsa_exception_fp_denorm_src 0
		.amdhsa_exception_fp_ieee_div_zero 0
		.amdhsa_exception_fp_ieee_overflow 0
		.amdhsa_exception_fp_ieee_underflow 0
		.amdhsa_exception_fp_ieee_inexact 0
		.amdhsa_exception_int_div_zero 0
	.end_amdhsa_kernel
	.text
.Lfunc_end0:
	.size	matmul_kernel_persistent, .Lfunc_end0-matmul_kernel_persistent
	.cfi_endproc
                                        ; -- End function
	.set matmul_kernel_persistent.num_vgpr, 131
	.set matmul_kernel_persistent.num_agpr, 0
	.set matmul_kernel_persistent.numbered_sgpr, 102
	.set matmul_kernel_persistent.num_named_barrier, 0
	.set matmul_kernel_persistent.private_seg_size, 0
	.set matmul_kernel_persistent.uses_vcc, 1
	.set matmul_kernel_persistent.uses_flat_scratch, 0
	.set matmul_kernel_persistent.has_dyn_sized_stack, 0
	.set matmul_kernel_persistent.has_recursion, 0
	.set matmul_kernel_persistent.has_indirect_call, 0
	.section	.AMDGPU.csdata,"",@progbits
; Kernel info:
; codeLenInByte = 39028
; TotalNumSgprs: 104
; NumVgprs: 131
; ScratchSize: 0
; MemoryBound: 0
; FloatMode: 240
; IeeeMode: 1
; LDSByteSize: 0 bytes/workgroup (compile time only)
; SGPRBlocks: 0
; VGPRBlocks: 16
; NumSGPRsForWavesPerEU: 104
; NumVGPRsForWavesPerEU: 131
; Occupancy: 10
; WaveLimiterHint : 0
; COMPUTE_PGM_RSRC2:SCRATCH_EN: 0
; COMPUTE_PGM_RSRC2:USER_SGPR: 2
; COMPUTE_PGM_RSRC2:TRAP_HANDLER: 0
; COMPUTE_PGM_RSRC2:TGID_X_EN: 1
; COMPUTE_PGM_RSRC2:TGID_Y_EN: 1
; COMPUTE_PGM_RSRC2:TGID_Z_EN: 1
; COMPUTE_PGM_RSRC2:TIDIG_COMP_CNT: 0
	.text
	.p2alignl 7, 3214868480
	.fill 96, 4, 3214868480
	.section	.AMDGPU.gpr_maximums,"",@progbits
	.set amdgpu.max_num_vgpr, 0
	.set amdgpu.max_num_agpr, 0
	.set amdgpu.max_num_sgpr, 0
	.set amdgpu.max_num_named_barrier, 0
	.text
	.section	.debug_abbrev,"",@progbits
	.byte	1                               ; Abbreviation Code
	.byte	17                              ; DW_TAG_compile_unit
	.byte	1                               ; DW_CHILDREN_yes
	.byte	37                              ; DW_AT_producer
	.byte	14                              ; DW_FORM_strp
	.byte	19                              ; DW_AT_language
	.byte	5                               ; DW_FORM_data2
	.byte	3                               ; DW_AT_name
	.byte	14                              ; DW_FORM_strp
	.byte	16                              ; DW_AT_stmt_list
	.byte	23                              ; DW_FORM_sec_offset
	.byte	27                              ; DW_AT_comp_dir
	.byte	14                              ; DW_FORM_strp
	.byte	17                              ; DW_AT_low_pc
	.byte	1                               ; DW_FORM_addr
	.byte	18                              ; DW_AT_high_pc
	.byte	6                               ; DW_FORM_data4
	.byte	0                               ; EOM(1)
	.byte	0                               ; EOM(2)
	.byte	2                               ; Abbreviation Code
	.byte	46                              ; DW_TAG_subprogram
	.byte	0                               ; DW_CHILDREN_no
	.byte	3                               ; DW_AT_name
	.byte	14                              ; DW_FORM_strp
	.byte	32                              ; DW_AT_inline
	.byte	11                              ; DW_FORM_data1
	.byte	0                               ; EOM(1)
	.byte	0                               ; EOM(2)
	.byte	3                               ; Abbreviation Code
	.byte	46                              ; DW_TAG_subprogram
	.byte	1                               ; DW_CHILDREN_yes
	.byte	17                              ; DW_AT_low_pc
	.byte	1                               ; DW_FORM_addr
	.byte	18                              ; DW_AT_high_pc
	.byte	6                               ; DW_FORM_data4
	.byte	49                              ; DW_AT_abstract_origin
	.byte	19                              ; DW_FORM_ref4
	.byte	0                               ; EOM(1)
	.byte	0                               ; EOM(2)
	.byte	4                               ; Abbreviation Code
	.byte	29                              ; DW_TAG_inlined_subroutine
	.byte	0                               ; DW_CHILDREN_no
	.byte	49                              ; DW_AT_abstract_origin
	.byte	19                              ; DW_FORM_ref4
	.byte	85                              ; DW_AT_ranges
	.byte	23                              ; DW_FORM_sec_offset
	.byte	88                              ; DW_AT_call_file
	.byte	11                              ; DW_FORM_data1
	.byte	89                              ; DW_AT_call_line
	.byte	11                              ; DW_FORM_data1
	.byte	87                              ; DW_AT_call_column
	.byte	11                              ; DW_FORM_data1
	.byte	0                               ; EOM(1)
	.byte	0                               ; EOM(2)
	;; [unrolled: 1-line block ×3, first 2 shown]
	.section	.debug_info,"",@progbits
.Lcu_begin0:
	.long	.Ldebug_info_end0-.Ldebug_info_start0 ; Length of Unit
.Ldebug_info_start0:
	.short	4                               ; DWARF version number
	.long	.debug_abbrev                   ; Offset Into Abbrev. Section
	.byte	8                               ; Address Size (in bytes)
	.byte	1                               ; Abbrev [1] 0xb:0x74 DW_TAG_compile_unit
	.long	.Linfo_string0                  ; DW_AT_producer
	.short	2                               ; DW_AT_language
	.long	.Linfo_string1                  ; DW_AT_name
	.long	.Lline_table_start0             ; DW_AT_stmt_list
	.long	.Linfo_string2                  ; DW_AT_comp_dir
	.quad	.Lfunc_begin0                   ; DW_AT_low_pc
	.long	.Lfunc_end0-.Lfunc_begin0       ; DW_AT_high_pc
	.byte	2                               ; Abbrev [2] 0x2a:0x6 DW_TAG_subprogram
	.long	.Linfo_string3                  ; DW_AT_name
	.byte	1                               ; DW_AT_inline
	.byte	3                               ; Abbrev [3] 0x30:0x4e DW_TAG_subprogram
	.quad	.Lfunc_begin0                   ; DW_AT_low_pc
	.long	.Lfunc_end0-.Lfunc_begin0       ; DW_AT_high_pc
	.long	42                              ; DW_AT_abstract_origin
	.byte	4                               ; Abbrev [4] 0x41:0xc DW_TAG_inlined_subroutine
	.long	42                              ; DW_AT_abstract_origin
	.long	.Ldebug_ranges0                 ; DW_AT_ranges
	.byte	1                               ; DW_AT_call_file
	.byte	31                              ; DW_AT_call_line
	.byte	27                              ; DW_AT_call_column
	.byte	4                               ; Abbrev [4] 0x4d:0xc DW_TAG_inlined_subroutine
	.long	42                              ; DW_AT_abstract_origin
	.long	.Ldebug_ranges1                 ; DW_AT_ranges
	.byte	1                               ; DW_AT_call_file
	.byte	32                              ; DW_AT_call_line
	.byte	27                              ; DW_AT_call_column
	.byte	4                               ; Abbrev [4] 0x59:0xc DW_TAG_inlined_subroutine
	.long	42                              ; DW_AT_abstract_origin
	.long	.Ldebug_ranges2                 ; DW_AT_ranges
	.byte	1                               ; DW_AT_call_file
	.byte	33                              ; DW_AT_call_line
	.byte	25                              ; DW_AT_call_column
	.byte	4                               ; Abbrev [4] 0x65:0xc DW_TAG_inlined_subroutine
	.long	42                              ; DW_AT_abstract_origin
	.long	.Ldebug_ranges3                 ; DW_AT_ranges
	.byte	1                               ; DW_AT_call_file
	.byte	44                              ; DW_AT_call_line
	.byte	88                              ; DW_AT_call_column
	.byte	4                               ; Abbrev [4] 0x71:0xc DW_TAG_inlined_subroutine
	.long	42                              ; DW_AT_abstract_origin
	.long	.Ldebug_ranges4                 ; DW_AT_ranges
	.byte	1                               ; DW_AT_call_file
	.byte	65                              ; DW_AT_call_line
	.byte	90                              ; DW_AT_call_column
	.byte	0                               ; End Of Children Mark
	.byte	0                               ; End Of Children Mark
.Ldebug_info_end0:
	.section	.debug_ranges,"",@progbits
.Ldebug_ranges0:
	.quad	.Ltmp1-.Lfunc_begin0
	.quad	.Ltmp2-.Lfunc_begin0
	;; [unrolled: 1-line block ×10, first 2 shown]
	.quad	0
	.quad	0
.Ldebug_ranges1:
	.quad	.Ltmp8-.Lfunc_begin0
	.quad	.Ltmp9-.Lfunc_begin0
	.quad	.Ltmp11-.Lfunc_begin0
	.quad	.Ltmp12-.Lfunc_begin0
	.quad	.Ltmp13-.Lfunc_begin0
	.quad	.Ltmp14-.Lfunc_begin0
	.quad	.Ltmp15-.Lfunc_begin0
	.quad	.Ltmp16-.Lfunc_begin0
	.quad	0
	.quad	0
.Ldebug_ranges2:
	.quad	.Ltmp17-.Lfunc_begin0
	.quad	.Ltmp18-.Lfunc_begin0
	;; [unrolled: 1-line block ×10, first 2 shown]
	.quad	0
	.quad	0
.Ldebug_ranges3:
	.quad	.Ltmp27-.Lfunc_begin0
	.quad	.Ltmp28-.Lfunc_begin0
	;; [unrolled: 1-line block ×16, first 2 shown]
	.quad	0
	.quad	0
.Ldebug_ranges4:
	.quad	.Ltmp43-.Lfunc_begin0
	.quad	.Ltmp44-.Lfunc_begin0
	;; [unrolled: 1-line block ×20, first 2 shown]
	.quad	0
	.quad	0
	.section	.debug_str,"MS",@progbits,1
.Linfo_string0:
	.asciz	"triton"                        ; string offset=0
.Linfo_string1:
	.asciz	"persistent_matmul.py"          ; string offset=7
.Linfo_string2:
	.asciz	"/root/src/amdgpu-assembly/repos/triton-lang__triton-aot" ; string offset=28
.Linfo_string3:
	.asciz	"matmul_kernel_persistent"      ; string offset=84
	.section	".note.GNU-stack","",@progbits
	.amdgpu_metadata
---
amdhsa.kernels:
  - .args:
      - .address_space:  global
        .offset:         0
        .size:           8
        .value_kind:     global_buffer
      - .address_space:  global
        .offset:         8
        .size:           8
        .value_kind:     global_buffer
      - .address_space:  global
        .offset:         16
        .size:           8
        .value_kind:     global_buffer
      - .offset:         24
        .size:           4
        .value_kind:     by_value
      - .offset:         28
        .size:           4
        .value_kind:     by_value
      - .offset:         32
        .size:           4
        .value_kind:     by_value
      - .offset:         36
        .size:           4
        .value_kind:     by_value
      - .offset:         40
        .size:           4
        .value_kind:     by_value
      - .offset:         44
        .size:           4
        .value_kind:     by_value
      - .offset:         48
        .size:           4
        .value_kind:     by_value
      - .offset:         52
        .size:           4
        .value_kind:     by_value
      - .offset:         56
        .size:           4
        .value_kind:     by_value
      - .address_space:  global
        .offset:         64
        .size:           8
        .value_kind:     global_buffer
      - .address_space:  global
        .offset:         72
        .size:           8
        .value_kind:     global_buffer
    .group_segment_fixed_size: 0
    .kernarg_segment_align: 8
    .kernarg_segment_size: 80
    .max_flat_workgroup_size: 128
    .name:           matmul_kernel_persistent
    .private_segment_fixed_size: 0
    .sgpr_count:     104
    .sgpr_spill_count: 0
    .symbol:         matmul_kernel_persistent.kd
    .uniform_work_group_size: 1
    .uses_dynamic_stack: false
    .vgpr_count:     131
    .vgpr_spill_count: 0
    .wavefront_size: 32
    .workgroup_processor_mode: 1
amdhsa.target:   amdgcn-amd-amdhsa--gfx1201
amdhsa.version:
  - 1
  - 2
...

	.end_amdgpu_metadata
	.section	.debug_line,"",@progbits
.Lline_table_start0:
